;; amdgpu-corpus repo=LLNL/RAJAPerf kind=compiled arch=gfx906 opt=O3
	.amdgcn_target "amdgcn-amd-amdhsa--gfx906"
	.amdhsa_code_object_version 6
	.section	.text._ZN8rajaperf9polybench10poly_mvt_1ILm256EEEvPdS2_S2_l,"axG",@progbits,_ZN8rajaperf9polybench10poly_mvt_1ILm256EEEvPdS2_S2_l,comdat
	.protected	_ZN8rajaperf9polybench10poly_mvt_1ILm256EEEvPdS2_S2_l ; -- Begin function _ZN8rajaperf9polybench10poly_mvt_1ILm256EEEvPdS2_S2_l
	.globl	_ZN8rajaperf9polybench10poly_mvt_1ILm256EEEvPdS2_S2_l
	.p2align	8
	.type	_ZN8rajaperf9polybench10poly_mvt_1ILm256EEEvPdS2_S2_l,@function
_ZN8rajaperf9polybench10poly_mvt_1ILm256EEEvPdS2_S2_l: ; @_ZN8rajaperf9polybench10poly_mvt_1ILm256EEEvPdS2_S2_l
; %bb.0:
	s_load_dwordx8 s[8:15], s[4:5], 0x0
	s_mov_b32 s7, 0
	s_lshl_b64 s[0:1], s[6:7], 8
	v_or_b32_e32 v0, s0, v0
	v_mov_b32_e32 v1, s1
	s_waitcnt lgkmcnt(0)
	v_cmp_gt_i64_e32 vcc, s[14:15], v[0:1]
	s_and_saveexec_b64 s[0:1], vcc
	s_cbranch_execz .LBB0_4
; %bb.1:
	v_mul_lo_u32 v4, s15, v0
	v_mul_lo_u32 v5, s14, v1
	v_mad_u64_u32 v[2:3], s[0:1], s14, v0, 0
	v_mov_b32_e32 v6, s9
	v_add3_u32 v3, v3, v5, v4
	v_lshlrev_b64 v[4:5], 3, v[2:3]
	v_mov_b32_e32 v2, 0
	v_add_co_u32_e32 v4, vcc, s8, v4
	v_mov_b32_e32 v3, 0
	v_addc_co_u32_e32 v5, vcc, v6, v5, vcc
.LBB0_2:                                ; =>This Inner Loop Header: Depth=1
	global_load_dwordx2 v[6:7], v[4:5], off
	s_load_dwordx2 s[0:1], s[12:13], 0x0
	s_add_u32 s14, s14, -1
	s_addc_u32 s15, s15, -1
	s_add_u32 s12, s12, 8
	v_add_co_u32_e32 v4, vcc, 8, v4
	s_addc_u32 s13, s13, 0
	s_cmp_eq_u64 s[14:15], 0
	v_addc_co_u32_e32 v5, vcc, 0, v5, vcc
	s_waitcnt vmcnt(0) lgkmcnt(0)
	v_fma_f64 v[2:3], v[6:7], s[0:1], v[2:3]
	s_cbranch_scc0 .LBB0_2
; %bb.3:
	v_lshlrev_b64 v[0:1], 3, v[0:1]
	v_mov_b32_e32 v4, s11
	v_add_co_u32_e32 v0, vcc, s10, v0
	v_addc_co_u32_e32 v1, vcc, v4, v1, vcc
	global_store_dwordx2 v[0:1], v[2:3], off
.LBB0_4:
	s_endpgm
	.section	.rodata,"a",@progbits
	.p2align	6, 0x0
	.amdhsa_kernel _ZN8rajaperf9polybench10poly_mvt_1ILm256EEEvPdS2_S2_l
		.amdhsa_group_segment_fixed_size 0
		.amdhsa_private_segment_fixed_size 0
		.amdhsa_kernarg_size 32
		.amdhsa_user_sgpr_count 6
		.amdhsa_user_sgpr_private_segment_buffer 1
		.amdhsa_user_sgpr_dispatch_ptr 0
		.amdhsa_user_sgpr_queue_ptr 0
		.amdhsa_user_sgpr_kernarg_segment_ptr 1
		.amdhsa_user_sgpr_dispatch_id 0
		.amdhsa_user_sgpr_flat_scratch_init 0
		.amdhsa_user_sgpr_private_segment_size 0
		.amdhsa_uses_dynamic_stack 0
		.amdhsa_system_sgpr_private_segment_wavefront_offset 0
		.amdhsa_system_sgpr_workgroup_id_x 1
		.amdhsa_system_sgpr_workgroup_id_y 0
		.amdhsa_system_sgpr_workgroup_id_z 0
		.amdhsa_system_sgpr_workgroup_info 0
		.amdhsa_system_vgpr_workitem_id 0
		.amdhsa_next_free_vgpr 8
		.amdhsa_next_free_sgpr 16
		.amdhsa_reserve_vcc 1
		.amdhsa_reserve_flat_scratch 0
		.amdhsa_float_round_mode_32 0
		.amdhsa_float_round_mode_16_64 0
		.amdhsa_float_denorm_mode_32 3
		.amdhsa_float_denorm_mode_16_64 3
		.amdhsa_dx10_clamp 1
		.amdhsa_ieee_mode 1
		.amdhsa_fp16_overflow 0
		.amdhsa_exception_fp_ieee_invalid_op 0
		.amdhsa_exception_fp_denorm_src 0
		.amdhsa_exception_fp_ieee_div_zero 0
		.amdhsa_exception_fp_ieee_overflow 0
		.amdhsa_exception_fp_ieee_underflow 0
		.amdhsa_exception_fp_ieee_inexact 0
		.amdhsa_exception_int_div_zero 0
	.end_amdhsa_kernel
	.section	.text._ZN8rajaperf9polybench10poly_mvt_1ILm256EEEvPdS2_S2_l,"axG",@progbits,_ZN8rajaperf9polybench10poly_mvt_1ILm256EEEvPdS2_S2_l,comdat
.Lfunc_end0:
	.size	_ZN8rajaperf9polybench10poly_mvt_1ILm256EEEvPdS2_S2_l, .Lfunc_end0-_ZN8rajaperf9polybench10poly_mvt_1ILm256EEEvPdS2_S2_l
                                        ; -- End function
	.set _ZN8rajaperf9polybench10poly_mvt_1ILm256EEEvPdS2_S2_l.num_vgpr, 8
	.set _ZN8rajaperf9polybench10poly_mvt_1ILm256EEEvPdS2_S2_l.num_agpr, 0
	.set _ZN8rajaperf9polybench10poly_mvt_1ILm256EEEvPdS2_S2_l.numbered_sgpr, 16
	.set _ZN8rajaperf9polybench10poly_mvt_1ILm256EEEvPdS2_S2_l.num_named_barrier, 0
	.set _ZN8rajaperf9polybench10poly_mvt_1ILm256EEEvPdS2_S2_l.private_seg_size, 0
	.set _ZN8rajaperf9polybench10poly_mvt_1ILm256EEEvPdS2_S2_l.uses_vcc, 1
	.set _ZN8rajaperf9polybench10poly_mvt_1ILm256EEEvPdS2_S2_l.uses_flat_scratch, 0
	.set _ZN8rajaperf9polybench10poly_mvt_1ILm256EEEvPdS2_S2_l.has_dyn_sized_stack, 0
	.set _ZN8rajaperf9polybench10poly_mvt_1ILm256EEEvPdS2_S2_l.has_recursion, 0
	.set _ZN8rajaperf9polybench10poly_mvt_1ILm256EEEvPdS2_S2_l.has_indirect_call, 0
	.section	.AMDGPU.csdata,"",@progbits
; Kernel info:
; codeLenInByte = 192
; TotalNumSgprs: 20
; NumVgprs: 8
; ScratchSize: 0
; MemoryBound: 0
; FloatMode: 240
; IeeeMode: 1
; LDSByteSize: 0 bytes/workgroup (compile time only)
; SGPRBlocks: 2
; VGPRBlocks: 1
; NumSGPRsForWavesPerEU: 20
; NumVGPRsForWavesPerEU: 8
; Occupancy: 10
; WaveLimiterHint : 0
; COMPUTE_PGM_RSRC2:SCRATCH_EN: 0
; COMPUTE_PGM_RSRC2:USER_SGPR: 6
; COMPUTE_PGM_RSRC2:TRAP_HANDLER: 0
; COMPUTE_PGM_RSRC2:TGID_X_EN: 1
; COMPUTE_PGM_RSRC2:TGID_Y_EN: 0
; COMPUTE_PGM_RSRC2:TGID_Z_EN: 0
; COMPUTE_PGM_RSRC2:TIDIG_COMP_CNT: 0
	.section	.text._ZN8rajaperf9polybench10poly_mvt_2ILm256EEEvPdS2_S2_l,"axG",@progbits,_ZN8rajaperf9polybench10poly_mvt_2ILm256EEEvPdS2_S2_l,comdat
	.protected	_ZN8rajaperf9polybench10poly_mvt_2ILm256EEEvPdS2_S2_l ; -- Begin function _ZN8rajaperf9polybench10poly_mvt_2ILm256EEEvPdS2_S2_l
	.globl	_ZN8rajaperf9polybench10poly_mvt_2ILm256EEEvPdS2_S2_l
	.p2align	8
	.type	_ZN8rajaperf9polybench10poly_mvt_2ILm256EEEvPdS2_S2_l,@function
_ZN8rajaperf9polybench10poly_mvt_2ILm256EEEvPdS2_S2_l: ; @_ZN8rajaperf9polybench10poly_mvt_2ILm256EEEvPdS2_S2_l
; %bb.0:
	s_load_dwordx8 s[8:15], s[4:5], 0x0
	s_mov_b32 s7, 0
	s_lshl_b64 s[0:1], s[6:7], 8
	v_or_b32_e32 v0, s0, v0
	v_mov_b32_e32 v1, s1
	s_waitcnt lgkmcnt(0)
	v_cmp_gt_i64_e32 vcc, s[14:15], v[0:1]
	s_and_saveexec_b64 s[0:1], vcc
	s_cbranch_execz .LBB1_4
; %bb.1:
	v_lshlrev_b64 v[0:1], 3, v[0:1]
	v_mov_b32_e32 v3, s13
	v_add_co_u32_e32 v2, vcc, s12, v0
	v_addc_co_u32_e32 v3, vcc, v3, v1, vcc
	global_load_dwordx2 v[4:5], v[2:3], off
	v_mov_b32_e32 v2, s9
	v_add_co_u32_e32 v6, vcc, s8, v0
	v_addc_co_u32_e32 v7, vcc, v2, v1, vcc
	s_lshl_b64 s[0:1], s[14:15], 3
	v_mov_b32_e32 v2, 0
	v_mov_b32_e32 v3, 0
	;; [unrolled: 1-line block ×3, first 2 shown]
.LBB1_2:                                ; =>This Inner Loop Header: Depth=1
	global_load_dwordx2 v[9:10], v[6:7], off
	s_add_u32 s14, s14, -1
	v_add_co_u32_e32 v6, vcc, s0, v6
	s_addc_u32 s15, s15, -1
	s_cmp_eq_u64 s[14:15], 0
	v_addc_co_u32_e32 v7, vcc, v7, v8, vcc
	s_waitcnt vmcnt(0)
	v_fma_f64 v[2:3], v[9:10], v[4:5], v[2:3]
	s_cbranch_scc0 .LBB1_2
; %bb.3:
	v_mov_b32_e32 v4, s11
	v_add_co_u32_e32 v0, vcc, s10, v0
	v_addc_co_u32_e32 v1, vcc, v4, v1, vcc
	global_store_dwordx2 v[0:1], v[2:3], off
.LBB1_4:
	s_endpgm
	.section	.rodata,"a",@progbits
	.p2align	6, 0x0
	.amdhsa_kernel _ZN8rajaperf9polybench10poly_mvt_2ILm256EEEvPdS2_S2_l
		.amdhsa_group_segment_fixed_size 0
		.amdhsa_private_segment_fixed_size 0
		.amdhsa_kernarg_size 32
		.amdhsa_user_sgpr_count 6
		.amdhsa_user_sgpr_private_segment_buffer 1
		.amdhsa_user_sgpr_dispatch_ptr 0
		.amdhsa_user_sgpr_queue_ptr 0
		.amdhsa_user_sgpr_kernarg_segment_ptr 1
		.amdhsa_user_sgpr_dispatch_id 0
		.amdhsa_user_sgpr_flat_scratch_init 0
		.amdhsa_user_sgpr_private_segment_size 0
		.amdhsa_uses_dynamic_stack 0
		.amdhsa_system_sgpr_private_segment_wavefront_offset 0
		.amdhsa_system_sgpr_workgroup_id_x 1
		.amdhsa_system_sgpr_workgroup_id_y 0
		.amdhsa_system_sgpr_workgroup_id_z 0
		.amdhsa_system_sgpr_workgroup_info 0
		.amdhsa_system_vgpr_workitem_id 0
		.amdhsa_next_free_vgpr 11
		.amdhsa_next_free_sgpr 16
		.amdhsa_reserve_vcc 1
		.amdhsa_reserve_flat_scratch 0
		.amdhsa_float_round_mode_32 0
		.amdhsa_float_round_mode_16_64 0
		.amdhsa_float_denorm_mode_32 3
		.amdhsa_float_denorm_mode_16_64 3
		.amdhsa_dx10_clamp 1
		.amdhsa_ieee_mode 1
		.amdhsa_fp16_overflow 0
		.amdhsa_exception_fp_ieee_invalid_op 0
		.amdhsa_exception_fp_denorm_src 0
		.amdhsa_exception_fp_ieee_div_zero 0
		.amdhsa_exception_fp_ieee_overflow 0
		.amdhsa_exception_fp_ieee_underflow 0
		.amdhsa_exception_fp_ieee_inexact 0
		.amdhsa_exception_int_div_zero 0
	.end_amdhsa_kernel
	.section	.text._ZN8rajaperf9polybench10poly_mvt_2ILm256EEEvPdS2_S2_l,"axG",@progbits,_ZN8rajaperf9polybench10poly_mvt_2ILm256EEEvPdS2_S2_l,comdat
.Lfunc_end1:
	.size	_ZN8rajaperf9polybench10poly_mvt_2ILm256EEEvPdS2_S2_l, .Lfunc_end1-_ZN8rajaperf9polybench10poly_mvt_2ILm256EEEvPdS2_S2_l
                                        ; -- End function
	.set _ZN8rajaperf9polybench10poly_mvt_2ILm256EEEvPdS2_S2_l.num_vgpr, 11
	.set _ZN8rajaperf9polybench10poly_mvt_2ILm256EEEvPdS2_S2_l.num_agpr, 0
	.set _ZN8rajaperf9polybench10poly_mvt_2ILm256EEEvPdS2_S2_l.numbered_sgpr, 16
	.set _ZN8rajaperf9polybench10poly_mvt_2ILm256EEEvPdS2_S2_l.num_named_barrier, 0
	.set _ZN8rajaperf9polybench10poly_mvt_2ILm256EEEvPdS2_S2_l.private_seg_size, 0
	.set _ZN8rajaperf9polybench10poly_mvt_2ILm256EEEvPdS2_S2_l.uses_vcc, 1
	.set _ZN8rajaperf9polybench10poly_mvt_2ILm256EEEvPdS2_S2_l.uses_flat_scratch, 0
	.set _ZN8rajaperf9polybench10poly_mvt_2ILm256EEEvPdS2_S2_l.has_dyn_sized_stack, 0
	.set _ZN8rajaperf9polybench10poly_mvt_2ILm256EEEvPdS2_S2_l.has_recursion, 0
	.set _ZN8rajaperf9polybench10poly_mvt_2ILm256EEEvPdS2_S2_l.has_indirect_call, 0
	.section	.AMDGPU.csdata,"",@progbits
; Kernel info:
; codeLenInByte = 164
; TotalNumSgprs: 20
; NumVgprs: 11
; ScratchSize: 0
; MemoryBound: 0
; FloatMode: 240
; IeeeMode: 1
; LDSByteSize: 0 bytes/workgroup (compile time only)
; SGPRBlocks: 2
; VGPRBlocks: 2
; NumSGPRsForWavesPerEU: 20
; NumVGPRsForWavesPerEU: 11
; Occupancy: 10
; WaveLimiterHint : 0
; COMPUTE_PGM_RSRC2:SCRATCH_EN: 0
; COMPUTE_PGM_RSRC2:USER_SGPR: 6
; COMPUTE_PGM_RSRC2:TRAP_HANDLER: 0
; COMPUTE_PGM_RSRC2:TGID_X_EN: 1
; COMPUTE_PGM_RSRC2:TGID_Y_EN: 0
; COMPUTE_PGM_RSRC2:TGID_Z_EN: 0
; COMPUTE_PGM_RSRC2:TIDIG_COMP_CNT: 0
	.section	.text._ZN4RAJA8internal22HipKernelLauncherFixedILi256ENS0_8LoopDataIN4camp5tupleIJNS_4SpanINS_9Iterators16numeric_iteratorIllPlEElEESA_EEENS4_IJdEEENS3_9resources2v13HipEJZZN8rajaperf9polybench13POLYBENCH_MVT17runHipVariantImplILm256EEEvNSG_9VariantIDEENKUlvE_clEvEUlRdE_ZZNSJ_ILm256EEEvSK_ENKSL_clEvEUlllSM_E_ZZNSJ_ILm256EEEvSK_ENKSL_clEvEUllSM_E_EEENS0_24HipStatementListExecutorISQ_NS3_4listIJNS_9statement3ForILl0ENS_6policy3hip11hip_indexerINS_17iteration_mapping6DirectELNS_23kernel_sync_requirementE0EJNS_3hip11IndexGlobalILNS_9named_dimE0ELi256ELi0EEEEEEJNST_6LambdaILl0EJNSS_IJNS0_9LambdaArgINS0_18lambda_arg_param_tELl0EEEEEEEEENSU_ILl1ENSV_10sequential8seq_execEJNS16_ILl1EJNSS_IJNS17_INS0_16lambda_arg_seg_tELl0EEENS17_IS1E_Ll1EEEEEES1A_EEEEEENS16_ILl2EJNSS_IJS1F_EEES1A_EEEEEEEEENS0_9LoopTypesINSS_IJvvEEES1P_EEEEEEvT0_,"axG",@progbits,_ZN4RAJA8internal22HipKernelLauncherFixedILi256ENS0_8LoopDataIN4camp5tupleIJNS_4SpanINS_9Iterators16numeric_iteratorIllPlEElEESA_EEENS4_IJdEEENS3_9resources2v13HipEJZZN8rajaperf9polybench13POLYBENCH_MVT17runHipVariantImplILm256EEEvNSG_9VariantIDEENKUlvE_clEvEUlRdE_ZZNSJ_ILm256EEEvSK_ENKSL_clEvEUlllSM_E_ZZNSJ_ILm256EEEvSK_ENKSL_clEvEUllSM_E_EEENS0_24HipStatementListExecutorISQ_NS3_4listIJNS_9statement3ForILl0ENS_6policy3hip11hip_indexerINS_17iteration_mapping6DirectELNS_23kernel_sync_requirementE0EJNS_3hip11IndexGlobalILNS_9named_dimE0ELi256ELi0EEEEEEJNST_6LambdaILl0EJNSS_IJNS0_9LambdaArgINS0_18lambda_arg_param_tELl0EEEEEEEEENSU_ILl1ENSV_10sequential8seq_execEJNS16_ILl1EJNSS_IJNS17_INS0_16lambda_arg_seg_tELl0EEENS17_IS1E_Ll1EEEEEES1A_EEEEEENS16_ILl2EJNSS_IJS1F_EEES1A_EEEEEEEEENS0_9LoopTypesINSS_IJvvEEES1P_EEEEEEvT0_,comdat
	.protected	_ZN4RAJA8internal22HipKernelLauncherFixedILi256ENS0_8LoopDataIN4camp5tupleIJNS_4SpanINS_9Iterators16numeric_iteratorIllPlEElEESA_EEENS4_IJdEEENS3_9resources2v13HipEJZZN8rajaperf9polybench13POLYBENCH_MVT17runHipVariantImplILm256EEEvNSG_9VariantIDEENKUlvE_clEvEUlRdE_ZZNSJ_ILm256EEEvSK_ENKSL_clEvEUlllSM_E_ZZNSJ_ILm256EEEvSK_ENKSL_clEvEUllSM_E_EEENS0_24HipStatementListExecutorISQ_NS3_4listIJNS_9statement3ForILl0ENS_6policy3hip11hip_indexerINS_17iteration_mapping6DirectELNS_23kernel_sync_requirementE0EJNS_3hip11IndexGlobalILNS_9named_dimE0ELi256ELi0EEEEEEJNST_6LambdaILl0EJNSS_IJNS0_9LambdaArgINS0_18lambda_arg_param_tELl0EEEEEEEEENSU_ILl1ENSV_10sequential8seq_execEJNS16_ILl1EJNSS_IJNS17_INS0_16lambda_arg_seg_tELl0EEENS17_IS1E_Ll1EEEEEES1A_EEEEEENS16_ILl2EJNSS_IJS1F_EEES1A_EEEEEEEEENS0_9LoopTypesINSS_IJvvEEES1P_EEEEEEvT0_ ; -- Begin function _ZN4RAJA8internal22HipKernelLauncherFixedILi256ENS0_8LoopDataIN4camp5tupleIJNS_4SpanINS_9Iterators16numeric_iteratorIllPlEElEESA_EEENS4_IJdEEENS3_9resources2v13HipEJZZN8rajaperf9polybench13POLYBENCH_MVT17runHipVariantImplILm256EEEvNSG_9VariantIDEENKUlvE_clEvEUlRdE_ZZNSJ_ILm256EEEvSK_ENKSL_clEvEUlllSM_E_ZZNSJ_ILm256EEEvSK_ENKSL_clEvEUllSM_E_EEENS0_24HipStatementListExecutorISQ_NS3_4listIJNS_9statement3ForILl0ENS_6policy3hip11hip_indexerINS_17iteration_mapping6DirectELNS_23kernel_sync_requirementE0EJNS_3hip11IndexGlobalILNS_9named_dimE0ELi256ELi0EEEEEEJNST_6LambdaILl0EJNSS_IJNS0_9LambdaArgINS0_18lambda_arg_param_tELl0EEEEEEEEENSU_ILl1ENSV_10sequential8seq_execEJNS16_ILl1EJNSS_IJNS17_INS0_16lambda_arg_seg_tELl0EEENS17_IS1E_Ll1EEEEEES1A_EEEEEENS16_ILl2EJNSS_IJS1F_EEES1A_EEEEEEEEENS0_9LoopTypesINSS_IJvvEEES1P_EEEEEEvT0_
	.globl	_ZN4RAJA8internal22HipKernelLauncherFixedILi256ENS0_8LoopDataIN4camp5tupleIJNS_4SpanINS_9Iterators16numeric_iteratorIllPlEElEESA_EEENS4_IJdEEENS3_9resources2v13HipEJZZN8rajaperf9polybench13POLYBENCH_MVT17runHipVariantImplILm256EEEvNSG_9VariantIDEENKUlvE_clEvEUlRdE_ZZNSJ_ILm256EEEvSK_ENKSL_clEvEUlllSM_E_ZZNSJ_ILm256EEEvSK_ENKSL_clEvEUllSM_E_EEENS0_24HipStatementListExecutorISQ_NS3_4listIJNS_9statement3ForILl0ENS_6policy3hip11hip_indexerINS_17iteration_mapping6DirectELNS_23kernel_sync_requirementE0EJNS_3hip11IndexGlobalILNS_9named_dimE0ELi256ELi0EEEEEEJNST_6LambdaILl0EJNSS_IJNS0_9LambdaArgINS0_18lambda_arg_param_tELl0EEEEEEEEENSU_ILl1ENSV_10sequential8seq_execEJNS16_ILl1EJNSS_IJNS17_INS0_16lambda_arg_seg_tELl0EEENS17_IS1E_Ll1EEEEEES1A_EEEEEENS16_ILl2EJNSS_IJS1F_EEES1A_EEEEEEEEENS0_9LoopTypesINSS_IJvvEEES1P_EEEEEEvT0_
	.p2align	8
	.type	_ZN4RAJA8internal22HipKernelLauncherFixedILi256ENS0_8LoopDataIN4camp5tupleIJNS_4SpanINS_9Iterators16numeric_iteratorIllPlEElEESA_EEENS4_IJdEEENS3_9resources2v13HipEJZZN8rajaperf9polybench13POLYBENCH_MVT17runHipVariantImplILm256EEEvNSG_9VariantIDEENKUlvE_clEvEUlRdE_ZZNSJ_ILm256EEEvSK_ENKSL_clEvEUlllSM_E_ZZNSJ_ILm256EEEvSK_ENKSL_clEvEUllSM_E_EEENS0_24HipStatementListExecutorISQ_NS3_4listIJNS_9statement3ForILl0ENS_6policy3hip11hip_indexerINS_17iteration_mapping6DirectELNS_23kernel_sync_requirementE0EJNS_3hip11IndexGlobalILNS_9named_dimE0ELi256ELi0EEEEEEJNST_6LambdaILl0EJNSS_IJNS0_9LambdaArgINS0_18lambda_arg_param_tELl0EEEEEEEEENSU_ILl1ENSV_10sequential8seq_execEJNS16_ILl1EJNSS_IJNS17_INS0_16lambda_arg_seg_tELl0EEENS17_IS1E_Ll1EEEEEES1A_EEEEEENS16_ILl2EJNSS_IJS1F_EEES1A_EEEEEEEEENS0_9LoopTypesINSS_IJvvEEES1P_EEEEEEvT0_,@function
_ZN4RAJA8internal22HipKernelLauncherFixedILi256ENS0_8LoopDataIN4camp5tupleIJNS_4SpanINS_9Iterators16numeric_iteratorIllPlEElEESA_EEENS4_IJdEEENS3_9resources2v13HipEJZZN8rajaperf9polybench13POLYBENCH_MVT17runHipVariantImplILm256EEEvNSG_9VariantIDEENKUlvE_clEvEUlRdE_ZZNSJ_ILm256EEEvSK_ENKSL_clEvEUlllSM_E_ZZNSJ_ILm256EEEvSK_ENKSL_clEvEUllSM_E_EEENS0_24HipStatementListExecutorISQ_NS3_4listIJNS_9statement3ForILl0ENS_6policy3hip11hip_indexerINS_17iteration_mapping6DirectELNS_23kernel_sync_requirementE0EJNS_3hip11IndexGlobalILNS_9named_dimE0ELi256ELi0EEEEEEJNST_6LambdaILl0EJNSS_IJNS0_9LambdaArgINS0_18lambda_arg_param_tELl0EEEEEEEEENSU_ILl1ENSV_10sequential8seq_execEJNS16_ILl1EJNSS_IJNS17_INS0_16lambda_arg_seg_tELl0EEENS17_IS1E_Ll1EEEEEES1A_EEEEEENS16_ILl2EJNSS_IJS1F_EEES1A_EEEEEEEEENS0_9LoopTypesINSS_IJvvEEES1P_EEEEEEvT0_: ; @_ZN4RAJA8internal22HipKernelLauncherFixedILi256ENS0_8LoopDataIN4camp5tupleIJNS_4SpanINS_9Iterators16numeric_iteratorIllPlEElEESA_EEENS4_IJdEEENS3_9resources2v13HipEJZZN8rajaperf9polybench13POLYBENCH_MVT17runHipVariantImplILm256EEEvNSG_9VariantIDEENKUlvE_clEvEUlRdE_ZZNSJ_ILm256EEEvSK_ENKSL_clEvEUlllSM_E_ZZNSJ_ILm256EEEvSK_ENKSL_clEvEUllSM_E_EEENS0_24HipStatementListExecutorISQ_NS3_4listIJNS_9statement3ForILl0ENS_6policy3hip11hip_indexerINS_17iteration_mapping6DirectELNS_23kernel_sync_requirementE0EJNS_3hip11IndexGlobalILNS_9named_dimE0ELi256ELi0EEEEEEJNST_6LambdaILl0EJNSS_IJNS0_9LambdaArgINS0_18lambda_arg_param_tELl0EEEEEEEEENSU_ILl1ENSV_10sequential8seq_execEJNS16_ILl1EJNSS_IJNS17_INS0_16lambda_arg_seg_tELl0EEENS17_IS1E_Ll1EEEEEES1A_EEEEEENS16_ILl2EJNSS_IJS1F_EEES1A_EEEEEEEEENS0_9LoopTypesINSS_IJvvEEES1P_EEEEEEvT0_
; %bb.0:
	s_load_dwordx8 s[8:15], s[4:5], 0x0
	s_load_dwordx2 s[16:17], s[4:5], 0x20
	s_load_dwordx2 s[2:3], s[4:5], 0xa8
	s_mov_b32 s7, 0
	s_waitcnt lgkmcnt(0)
	s_sub_u32 s0, s10, s8
	s_subb_u32 s1, s11, s9
	s_lshl_b64 s[6:7], s[6:7], 8
	v_or_b32_e32 v2, s6, v0
	v_mov_b32_e32 v3, s7
	s_sub_u32 s6, s14, s12
	v_cmp_gt_i64_e64 s[0:1], s[0:1], v[2:3]
	s_subb_u32 s7, s15, s13
	v_mov_b32_e32 v0, s17
	v_cmp_lt_i64_e64 s[10:11], s[6:7], 1
	v_cndmask_b32_e64 v1, v0, 0, s[0:1]
	v_mov_b32_e32 v0, s16
	v_cndmask_b32_e64 v0, v0, 0, s[0:1]
	s_and_b64 vcc, exec, s[10:11]
	s_cbranch_vccnz .LBB2_5
; %bb.1:
	s_load_dwordx2 s[10:11], s[4:5], 0x50
	v_mov_b32_e32 v4, s9
	v_add_co_u32_e32 v5, vcc, s8, v2
	v_addc_co_u32_e32 v4, vcc, v4, v3, vcc
	s_waitcnt lgkmcnt(0)
	v_mul_lo_u32 v6, s11, v5
	v_mul_lo_u32 v7, s10, v4
	v_mad_u64_u32 v[4:5], s[10:11], s10, v5, 0
	s_load_dwordx2 s[10:11], s[4:5], 0x38
	s_load_dwordx2 s[14:15], s[4:5], 0x80
	s_lshl_b64 s[4:5], s[12:13], 3
	v_add3_u32 v5, v5, v7, v6
	v_lshlrev_b64 v[4:5], 3, v[4:5]
	s_waitcnt lgkmcnt(0)
	s_add_u32 s10, s10, s4
	s_addc_u32 s11, s11, s5
	v_mov_b32_e32 v6, s11
	v_add_co_u32_e32 v4, vcc, s10, v4
	s_add_u32 s4, s14, s4
	v_addc_co_u32_e32 v5, vcc, v6, v5, vcc
	s_addc_u32 s5, s15, s5
	s_mov_b64 s[10:11], 0
	s_branch .LBB2_3
.LBB2_2:                                ;   in Loop: Header=BB2_3 Depth=1
	s_or_b64 exec, exec, s[12:13]
	s_add_u32 s10, s10, 1
	v_add_co_u32_e32 v4, vcc, 8, v4
	v_mov_b32_e32 v6, s6
	s_addc_u32 s11, s11, 0
	v_addc_co_u32_e32 v5, vcc, 0, v5, vcc
	v_mov_b32_e32 v7, s7
	v_cmp_lt_i64_e32 vcc, s[10:11], v[6:7]
	s_add_u32 s4, s4, 8
	s_addc_u32 s5, s5, 0
	s_cbranch_vccz .LBB2_5
.LBB2_3:                                ; =>This Inner Loop Header: Depth=1
	s_and_saveexec_b64 s[12:13], s[0:1]
	s_cbranch_execz .LBB2_2
; %bb.4:                                ;   in Loop: Header=BB2_3 Depth=1
	global_load_dwordx2 v[6:7], v[4:5], off
	s_load_dwordx2 s[14:15], s[4:5], 0x0
	s_waitcnt vmcnt(0) lgkmcnt(0)
	v_fma_f64 v[0:1], v[6:7], s[14:15], v[0:1]
	s_branch .LBB2_2
.LBB2_5:
	s_and_saveexec_b64 s[4:5], s[0:1]
	s_cbranch_execz .LBB2_7
; %bb.6:
	v_lshlrev_b64 v[2:3], 3, v[2:3]
	v_mov_b32_e32 v4, s3
	v_add_co_u32_e32 v2, vcc, s2, v2
	v_addc_co_u32_e32 v3, vcc, v4, v3, vcc
	s_lshl_b64 s[0:1], s[8:9], 3
	v_mov_b32_e32 v4, s1
	v_add_co_u32_e32 v2, vcc, s0, v2
	v_addc_co_u32_e32 v3, vcc, v3, v4, vcc
	global_store_dwordx2 v[2:3], v[0:1], off
.LBB2_7:
	s_endpgm
	.section	.rodata,"a",@progbits
	.p2align	6, 0x0
	.amdhsa_kernel _ZN4RAJA8internal22HipKernelLauncherFixedILi256ENS0_8LoopDataIN4camp5tupleIJNS_4SpanINS_9Iterators16numeric_iteratorIllPlEElEESA_EEENS4_IJdEEENS3_9resources2v13HipEJZZN8rajaperf9polybench13POLYBENCH_MVT17runHipVariantImplILm256EEEvNSG_9VariantIDEENKUlvE_clEvEUlRdE_ZZNSJ_ILm256EEEvSK_ENKSL_clEvEUlllSM_E_ZZNSJ_ILm256EEEvSK_ENKSL_clEvEUllSM_E_EEENS0_24HipStatementListExecutorISQ_NS3_4listIJNS_9statement3ForILl0ENS_6policy3hip11hip_indexerINS_17iteration_mapping6DirectELNS_23kernel_sync_requirementE0EJNS_3hip11IndexGlobalILNS_9named_dimE0ELi256ELi0EEEEEEJNST_6LambdaILl0EJNSS_IJNS0_9LambdaArgINS0_18lambda_arg_param_tELl0EEEEEEEEENSU_ILl1ENSV_10sequential8seq_execEJNS16_ILl1EJNSS_IJNS17_INS0_16lambda_arg_seg_tELl0EEENS17_IS1E_Ll1EEEEEES1A_EEEEEENS16_ILl2EJNSS_IJS1F_EEES1A_EEEEEEEEENS0_9LoopTypesINSS_IJvvEEES1P_EEEEEEvT0_
		.amdhsa_group_segment_fixed_size 0
		.amdhsa_private_segment_fixed_size 0
		.amdhsa_kernarg_size 232
		.amdhsa_user_sgpr_count 6
		.amdhsa_user_sgpr_private_segment_buffer 1
		.amdhsa_user_sgpr_dispatch_ptr 0
		.amdhsa_user_sgpr_queue_ptr 0
		.amdhsa_user_sgpr_kernarg_segment_ptr 1
		.amdhsa_user_sgpr_dispatch_id 0
		.amdhsa_user_sgpr_flat_scratch_init 0
		.amdhsa_user_sgpr_private_segment_size 0
		.amdhsa_uses_dynamic_stack 0
		.amdhsa_system_sgpr_private_segment_wavefront_offset 0
		.amdhsa_system_sgpr_workgroup_id_x 1
		.amdhsa_system_sgpr_workgroup_id_y 0
		.amdhsa_system_sgpr_workgroup_id_z 0
		.amdhsa_system_sgpr_workgroup_info 0
		.amdhsa_system_vgpr_workitem_id 0
		.amdhsa_next_free_vgpr 8
		.amdhsa_next_free_sgpr 18
		.amdhsa_reserve_vcc 1
		.amdhsa_reserve_flat_scratch 0
		.amdhsa_float_round_mode_32 0
		.amdhsa_float_round_mode_16_64 0
		.amdhsa_float_denorm_mode_32 3
		.amdhsa_float_denorm_mode_16_64 3
		.amdhsa_dx10_clamp 1
		.amdhsa_ieee_mode 1
		.amdhsa_fp16_overflow 0
		.amdhsa_exception_fp_ieee_invalid_op 0
		.amdhsa_exception_fp_denorm_src 0
		.amdhsa_exception_fp_ieee_div_zero 0
		.amdhsa_exception_fp_ieee_overflow 0
		.amdhsa_exception_fp_ieee_underflow 0
		.amdhsa_exception_fp_ieee_inexact 0
		.amdhsa_exception_int_div_zero 0
	.end_amdhsa_kernel
	.section	.text._ZN4RAJA8internal22HipKernelLauncherFixedILi256ENS0_8LoopDataIN4camp5tupleIJNS_4SpanINS_9Iterators16numeric_iteratorIllPlEElEESA_EEENS4_IJdEEENS3_9resources2v13HipEJZZN8rajaperf9polybench13POLYBENCH_MVT17runHipVariantImplILm256EEEvNSG_9VariantIDEENKUlvE_clEvEUlRdE_ZZNSJ_ILm256EEEvSK_ENKSL_clEvEUlllSM_E_ZZNSJ_ILm256EEEvSK_ENKSL_clEvEUllSM_E_EEENS0_24HipStatementListExecutorISQ_NS3_4listIJNS_9statement3ForILl0ENS_6policy3hip11hip_indexerINS_17iteration_mapping6DirectELNS_23kernel_sync_requirementE0EJNS_3hip11IndexGlobalILNS_9named_dimE0ELi256ELi0EEEEEEJNST_6LambdaILl0EJNSS_IJNS0_9LambdaArgINS0_18lambda_arg_param_tELl0EEEEEEEEENSU_ILl1ENSV_10sequential8seq_execEJNS16_ILl1EJNSS_IJNS17_INS0_16lambda_arg_seg_tELl0EEENS17_IS1E_Ll1EEEEEES1A_EEEEEENS16_ILl2EJNSS_IJS1F_EEES1A_EEEEEEEEENS0_9LoopTypesINSS_IJvvEEES1P_EEEEEEvT0_,"axG",@progbits,_ZN4RAJA8internal22HipKernelLauncherFixedILi256ENS0_8LoopDataIN4camp5tupleIJNS_4SpanINS_9Iterators16numeric_iteratorIllPlEElEESA_EEENS4_IJdEEENS3_9resources2v13HipEJZZN8rajaperf9polybench13POLYBENCH_MVT17runHipVariantImplILm256EEEvNSG_9VariantIDEENKUlvE_clEvEUlRdE_ZZNSJ_ILm256EEEvSK_ENKSL_clEvEUlllSM_E_ZZNSJ_ILm256EEEvSK_ENKSL_clEvEUllSM_E_EEENS0_24HipStatementListExecutorISQ_NS3_4listIJNS_9statement3ForILl0ENS_6policy3hip11hip_indexerINS_17iteration_mapping6DirectELNS_23kernel_sync_requirementE0EJNS_3hip11IndexGlobalILNS_9named_dimE0ELi256ELi0EEEEEEJNST_6LambdaILl0EJNSS_IJNS0_9LambdaArgINS0_18lambda_arg_param_tELl0EEEEEEEEENSU_ILl1ENSV_10sequential8seq_execEJNS16_ILl1EJNSS_IJNS17_INS0_16lambda_arg_seg_tELl0EEENS17_IS1E_Ll1EEEEEES1A_EEEEEENS16_ILl2EJNSS_IJS1F_EEES1A_EEEEEEEEENS0_9LoopTypesINSS_IJvvEEES1P_EEEEEEvT0_,comdat
.Lfunc_end2:
	.size	_ZN4RAJA8internal22HipKernelLauncherFixedILi256ENS0_8LoopDataIN4camp5tupleIJNS_4SpanINS_9Iterators16numeric_iteratorIllPlEElEESA_EEENS4_IJdEEENS3_9resources2v13HipEJZZN8rajaperf9polybench13POLYBENCH_MVT17runHipVariantImplILm256EEEvNSG_9VariantIDEENKUlvE_clEvEUlRdE_ZZNSJ_ILm256EEEvSK_ENKSL_clEvEUlllSM_E_ZZNSJ_ILm256EEEvSK_ENKSL_clEvEUllSM_E_EEENS0_24HipStatementListExecutorISQ_NS3_4listIJNS_9statement3ForILl0ENS_6policy3hip11hip_indexerINS_17iteration_mapping6DirectELNS_23kernel_sync_requirementE0EJNS_3hip11IndexGlobalILNS_9named_dimE0ELi256ELi0EEEEEEJNST_6LambdaILl0EJNSS_IJNS0_9LambdaArgINS0_18lambda_arg_param_tELl0EEEEEEEEENSU_ILl1ENSV_10sequential8seq_execEJNS16_ILl1EJNSS_IJNS17_INS0_16lambda_arg_seg_tELl0EEENS17_IS1E_Ll1EEEEEES1A_EEEEEENS16_ILl2EJNSS_IJS1F_EEES1A_EEEEEEEEENS0_9LoopTypesINSS_IJvvEEES1P_EEEEEEvT0_, .Lfunc_end2-_ZN4RAJA8internal22HipKernelLauncherFixedILi256ENS0_8LoopDataIN4camp5tupleIJNS_4SpanINS_9Iterators16numeric_iteratorIllPlEElEESA_EEENS4_IJdEEENS3_9resources2v13HipEJZZN8rajaperf9polybench13POLYBENCH_MVT17runHipVariantImplILm256EEEvNSG_9VariantIDEENKUlvE_clEvEUlRdE_ZZNSJ_ILm256EEEvSK_ENKSL_clEvEUlllSM_E_ZZNSJ_ILm256EEEvSK_ENKSL_clEvEUllSM_E_EEENS0_24HipStatementListExecutorISQ_NS3_4listIJNS_9statement3ForILl0ENS_6policy3hip11hip_indexerINS_17iteration_mapping6DirectELNS_23kernel_sync_requirementE0EJNS_3hip11IndexGlobalILNS_9named_dimE0ELi256ELi0EEEEEEJNST_6LambdaILl0EJNSS_IJNS0_9LambdaArgINS0_18lambda_arg_param_tELl0EEEEEEEEENSU_ILl1ENSV_10sequential8seq_execEJNS16_ILl1EJNSS_IJNS17_INS0_16lambda_arg_seg_tELl0EEENS17_IS1E_Ll1EEEEEES1A_EEEEEENS16_ILl2EJNSS_IJS1F_EEES1A_EEEEEEEEENS0_9LoopTypesINSS_IJvvEEES1P_EEEEEEvT0_
                                        ; -- End function
	.set _ZN4RAJA8internal22HipKernelLauncherFixedILi256ENS0_8LoopDataIN4camp5tupleIJNS_4SpanINS_9Iterators16numeric_iteratorIllPlEElEESA_EEENS4_IJdEEENS3_9resources2v13HipEJZZN8rajaperf9polybench13POLYBENCH_MVT17runHipVariantImplILm256EEEvNSG_9VariantIDEENKUlvE_clEvEUlRdE_ZZNSJ_ILm256EEEvSK_ENKSL_clEvEUlllSM_E_ZZNSJ_ILm256EEEvSK_ENKSL_clEvEUllSM_E_EEENS0_24HipStatementListExecutorISQ_NS3_4listIJNS_9statement3ForILl0ENS_6policy3hip11hip_indexerINS_17iteration_mapping6DirectELNS_23kernel_sync_requirementE0EJNS_3hip11IndexGlobalILNS_9named_dimE0ELi256ELi0EEEEEEJNST_6LambdaILl0EJNSS_IJNS0_9LambdaArgINS0_18lambda_arg_param_tELl0EEEEEEEEENSU_ILl1ENSV_10sequential8seq_execEJNS16_ILl1EJNSS_IJNS17_INS0_16lambda_arg_seg_tELl0EEENS17_IS1E_Ll1EEEEEES1A_EEEEEENS16_ILl2EJNSS_IJS1F_EEES1A_EEEEEEEEENS0_9LoopTypesINSS_IJvvEEES1P_EEEEEEvT0_.num_vgpr, 8
	.set _ZN4RAJA8internal22HipKernelLauncherFixedILi256ENS0_8LoopDataIN4camp5tupleIJNS_4SpanINS_9Iterators16numeric_iteratorIllPlEElEESA_EEENS4_IJdEEENS3_9resources2v13HipEJZZN8rajaperf9polybench13POLYBENCH_MVT17runHipVariantImplILm256EEEvNSG_9VariantIDEENKUlvE_clEvEUlRdE_ZZNSJ_ILm256EEEvSK_ENKSL_clEvEUlllSM_E_ZZNSJ_ILm256EEEvSK_ENKSL_clEvEUllSM_E_EEENS0_24HipStatementListExecutorISQ_NS3_4listIJNS_9statement3ForILl0ENS_6policy3hip11hip_indexerINS_17iteration_mapping6DirectELNS_23kernel_sync_requirementE0EJNS_3hip11IndexGlobalILNS_9named_dimE0ELi256ELi0EEEEEEJNST_6LambdaILl0EJNSS_IJNS0_9LambdaArgINS0_18lambda_arg_param_tELl0EEEEEEEEENSU_ILl1ENSV_10sequential8seq_execEJNS16_ILl1EJNSS_IJNS17_INS0_16lambda_arg_seg_tELl0EEENS17_IS1E_Ll1EEEEEES1A_EEEEEENS16_ILl2EJNSS_IJS1F_EEES1A_EEEEEEEEENS0_9LoopTypesINSS_IJvvEEES1P_EEEEEEvT0_.num_agpr, 0
	.set _ZN4RAJA8internal22HipKernelLauncherFixedILi256ENS0_8LoopDataIN4camp5tupleIJNS_4SpanINS_9Iterators16numeric_iteratorIllPlEElEESA_EEENS4_IJdEEENS3_9resources2v13HipEJZZN8rajaperf9polybench13POLYBENCH_MVT17runHipVariantImplILm256EEEvNSG_9VariantIDEENKUlvE_clEvEUlRdE_ZZNSJ_ILm256EEEvSK_ENKSL_clEvEUlllSM_E_ZZNSJ_ILm256EEEvSK_ENKSL_clEvEUllSM_E_EEENS0_24HipStatementListExecutorISQ_NS3_4listIJNS_9statement3ForILl0ENS_6policy3hip11hip_indexerINS_17iteration_mapping6DirectELNS_23kernel_sync_requirementE0EJNS_3hip11IndexGlobalILNS_9named_dimE0ELi256ELi0EEEEEEJNST_6LambdaILl0EJNSS_IJNS0_9LambdaArgINS0_18lambda_arg_param_tELl0EEEEEEEEENSU_ILl1ENSV_10sequential8seq_execEJNS16_ILl1EJNSS_IJNS17_INS0_16lambda_arg_seg_tELl0EEENS17_IS1E_Ll1EEEEEES1A_EEEEEENS16_ILl2EJNSS_IJS1F_EEES1A_EEEEEEEEENS0_9LoopTypesINSS_IJvvEEES1P_EEEEEEvT0_.numbered_sgpr, 18
	.set _ZN4RAJA8internal22HipKernelLauncherFixedILi256ENS0_8LoopDataIN4camp5tupleIJNS_4SpanINS_9Iterators16numeric_iteratorIllPlEElEESA_EEENS4_IJdEEENS3_9resources2v13HipEJZZN8rajaperf9polybench13POLYBENCH_MVT17runHipVariantImplILm256EEEvNSG_9VariantIDEENKUlvE_clEvEUlRdE_ZZNSJ_ILm256EEEvSK_ENKSL_clEvEUlllSM_E_ZZNSJ_ILm256EEEvSK_ENKSL_clEvEUllSM_E_EEENS0_24HipStatementListExecutorISQ_NS3_4listIJNS_9statement3ForILl0ENS_6policy3hip11hip_indexerINS_17iteration_mapping6DirectELNS_23kernel_sync_requirementE0EJNS_3hip11IndexGlobalILNS_9named_dimE0ELi256ELi0EEEEEEJNST_6LambdaILl0EJNSS_IJNS0_9LambdaArgINS0_18lambda_arg_param_tELl0EEEEEEEEENSU_ILl1ENSV_10sequential8seq_execEJNS16_ILl1EJNSS_IJNS17_INS0_16lambda_arg_seg_tELl0EEENS17_IS1E_Ll1EEEEEES1A_EEEEEENS16_ILl2EJNSS_IJS1F_EEES1A_EEEEEEEEENS0_9LoopTypesINSS_IJvvEEES1P_EEEEEEvT0_.num_named_barrier, 0
	.set _ZN4RAJA8internal22HipKernelLauncherFixedILi256ENS0_8LoopDataIN4camp5tupleIJNS_4SpanINS_9Iterators16numeric_iteratorIllPlEElEESA_EEENS4_IJdEEENS3_9resources2v13HipEJZZN8rajaperf9polybench13POLYBENCH_MVT17runHipVariantImplILm256EEEvNSG_9VariantIDEENKUlvE_clEvEUlRdE_ZZNSJ_ILm256EEEvSK_ENKSL_clEvEUlllSM_E_ZZNSJ_ILm256EEEvSK_ENKSL_clEvEUllSM_E_EEENS0_24HipStatementListExecutorISQ_NS3_4listIJNS_9statement3ForILl0ENS_6policy3hip11hip_indexerINS_17iteration_mapping6DirectELNS_23kernel_sync_requirementE0EJNS_3hip11IndexGlobalILNS_9named_dimE0ELi256ELi0EEEEEEJNST_6LambdaILl0EJNSS_IJNS0_9LambdaArgINS0_18lambda_arg_param_tELl0EEEEEEEEENSU_ILl1ENSV_10sequential8seq_execEJNS16_ILl1EJNSS_IJNS17_INS0_16lambda_arg_seg_tELl0EEENS17_IS1E_Ll1EEEEEES1A_EEEEEENS16_ILl2EJNSS_IJS1F_EEES1A_EEEEEEEEENS0_9LoopTypesINSS_IJvvEEES1P_EEEEEEvT0_.private_seg_size, 0
	.set _ZN4RAJA8internal22HipKernelLauncherFixedILi256ENS0_8LoopDataIN4camp5tupleIJNS_4SpanINS_9Iterators16numeric_iteratorIllPlEElEESA_EEENS4_IJdEEENS3_9resources2v13HipEJZZN8rajaperf9polybench13POLYBENCH_MVT17runHipVariantImplILm256EEEvNSG_9VariantIDEENKUlvE_clEvEUlRdE_ZZNSJ_ILm256EEEvSK_ENKSL_clEvEUlllSM_E_ZZNSJ_ILm256EEEvSK_ENKSL_clEvEUllSM_E_EEENS0_24HipStatementListExecutorISQ_NS3_4listIJNS_9statement3ForILl0ENS_6policy3hip11hip_indexerINS_17iteration_mapping6DirectELNS_23kernel_sync_requirementE0EJNS_3hip11IndexGlobalILNS_9named_dimE0ELi256ELi0EEEEEEJNST_6LambdaILl0EJNSS_IJNS0_9LambdaArgINS0_18lambda_arg_param_tELl0EEEEEEEEENSU_ILl1ENSV_10sequential8seq_execEJNS16_ILl1EJNSS_IJNS17_INS0_16lambda_arg_seg_tELl0EEENS17_IS1E_Ll1EEEEEES1A_EEEEEENS16_ILl2EJNSS_IJS1F_EEES1A_EEEEEEEEENS0_9LoopTypesINSS_IJvvEEES1P_EEEEEEvT0_.uses_vcc, 1
	.set _ZN4RAJA8internal22HipKernelLauncherFixedILi256ENS0_8LoopDataIN4camp5tupleIJNS_4SpanINS_9Iterators16numeric_iteratorIllPlEElEESA_EEENS4_IJdEEENS3_9resources2v13HipEJZZN8rajaperf9polybench13POLYBENCH_MVT17runHipVariantImplILm256EEEvNSG_9VariantIDEENKUlvE_clEvEUlRdE_ZZNSJ_ILm256EEEvSK_ENKSL_clEvEUlllSM_E_ZZNSJ_ILm256EEEvSK_ENKSL_clEvEUllSM_E_EEENS0_24HipStatementListExecutorISQ_NS3_4listIJNS_9statement3ForILl0ENS_6policy3hip11hip_indexerINS_17iteration_mapping6DirectELNS_23kernel_sync_requirementE0EJNS_3hip11IndexGlobalILNS_9named_dimE0ELi256ELi0EEEEEEJNST_6LambdaILl0EJNSS_IJNS0_9LambdaArgINS0_18lambda_arg_param_tELl0EEEEEEEEENSU_ILl1ENSV_10sequential8seq_execEJNS16_ILl1EJNSS_IJNS17_INS0_16lambda_arg_seg_tELl0EEENS17_IS1E_Ll1EEEEEES1A_EEEEEENS16_ILl2EJNSS_IJS1F_EEES1A_EEEEEEEEENS0_9LoopTypesINSS_IJvvEEES1P_EEEEEEvT0_.uses_flat_scratch, 0
	.set _ZN4RAJA8internal22HipKernelLauncherFixedILi256ENS0_8LoopDataIN4camp5tupleIJNS_4SpanINS_9Iterators16numeric_iteratorIllPlEElEESA_EEENS4_IJdEEENS3_9resources2v13HipEJZZN8rajaperf9polybench13POLYBENCH_MVT17runHipVariantImplILm256EEEvNSG_9VariantIDEENKUlvE_clEvEUlRdE_ZZNSJ_ILm256EEEvSK_ENKSL_clEvEUlllSM_E_ZZNSJ_ILm256EEEvSK_ENKSL_clEvEUllSM_E_EEENS0_24HipStatementListExecutorISQ_NS3_4listIJNS_9statement3ForILl0ENS_6policy3hip11hip_indexerINS_17iteration_mapping6DirectELNS_23kernel_sync_requirementE0EJNS_3hip11IndexGlobalILNS_9named_dimE0ELi256ELi0EEEEEEJNST_6LambdaILl0EJNSS_IJNS0_9LambdaArgINS0_18lambda_arg_param_tELl0EEEEEEEEENSU_ILl1ENSV_10sequential8seq_execEJNS16_ILl1EJNSS_IJNS17_INS0_16lambda_arg_seg_tELl0EEENS17_IS1E_Ll1EEEEEES1A_EEEEEENS16_ILl2EJNSS_IJS1F_EEES1A_EEEEEEEEENS0_9LoopTypesINSS_IJvvEEES1P_EEEEEEvT0_.has_dyn_sized_stack, 0
	.set _ZN4RAJA8internal22HipKernelLauncherFixedILi256ENS0_8LoopDataIN4camp5tupleIJNS_4SpanINS_9Iterators16numeric_iteratorIllPlEElEESA_EEENS4_IJdEEENS3_9resources2v13HipEJZZN8rajaperf9polybench13POLYBENCH_MVT17runHipVariantImplILm256EEEvNSG_9VariantIDEENKUlvE_clEvEUlRdE_ZZNSJ_ILm256EEEvSK_ENKSL_clEvEUlllSM_E_ZZNSJ_ILm256EEEvSK_ENKSL_clEvEUllSM_E_EEENS0_24HipStatementListExecutorISQ_NS3_4listIJNS_9statement3ForILl0ENS_6policy3hip11hip_indexerINS_17iteration_mapping6DirectELNS_23kernel_sync_requirementE0EJNS_3hip11IndexGlobalILNS_9named_dimE0ELi256ELi0EEEEEEJNST_6LambdaILl0EJNSS_IJNS0_9LambdaArgINS0_18lambda_arg_param_tELl0EEEEEEEEENSU_ILl1ENSV_10sequential8seq_execEJNS16_ILl1EJNSS_IJNS17_INS0_16lambda_arg_seg_tELl0EEENS17_IS1E_Ll1EEEEEES1A_EEEEEENS16_ILl2EJNSS_IJS1F_EEES1A_EEEEEEEEENS0_9LoopTypesINSS_IJvvEEES1P_EEEEEEvT0_.has_recursion, 0
	.set _ZN4RAJA8internal22HipKernelLauncherFixedILi256ENS0_8LoopDataIN4camp5tupleIJNS_4SpanINS_9Iterators16numeric_iteratorIllPlEElEESA_EEENS4_IJdEEENS3_9resources2v13HipEJZZN8rajaperf9polybench13POLYBENCH_MVT17runHipVariantImplILm256EEEvNSG_9VariantIDEENKUlvE_clEvEUlRdE_ZZNSJ_ILm256EEEvSK_ENKSL_clEvEUlllSM_E_ZZNSJ_ILm256EEEvSK_ENKSL_clEvEUllSM_E_EEENS0_24HipStatementListExecutorISQ_NS3_4listIJNS_9statement3ForILl0ENS_6policy3hip11hip_indexerINS_17iteration_mapping6DirectELNS_23kernel_sync_requirementE0EJNS_3hip11IndexGlobalILNS_9named_dimE0ELi256ELi0EEEEEEJNST_6LambdaILl0EJNSS_IJNS0_9LambdaArgINS0_18lambda_arg_param_tELl0EEEEEEEEENSU_ILl1ENSV_10sequential8seq_execEJNS16_ILl1EJNSS_IJNS17_INS0_16lambda_arg_seg_tELl0EEENS17_IS1E_Ll1EEEEEES1A_EEEEEENS16_ILl2EJNSS_IJS1F_EEES1A_EEEEEEEEENS0_9LoopTypesINSS_IJvvEEES1P_EEEEEEvT0_.has_indirect_call, 0
	.section	.AMDGPU.csdata,"",@progbits
; Kernel info:
; codeLenInByte = 372
; TotalNumSgprs: 22
; NumVgprs: 8
; ScratchSize: 0
; MemoryBound: 1
; FloatMode: 240
; IeeeMode: 1
; LDSByteSize: 0 bytes/workgroup (compile time only)
; SGPRBlocks: 2
; VGPRBlocks: 1
; NumSGPRsForWavesPerEU: 22
; NumVGPRsForWavesPerEU: 8
; Occupancy: 10
; WaveLimiterHint : 0
; COMPUTE_PGM_RSRC2:SCRATCH_EN: 0
; COMPUTE_PGM_RSRC2:USER_SGPR: 6
; COMPUTE_PGM_RSRC2:TRAP_HANDLER: 0
; COMPUTE_PGM_RSRC2:TGID_X_EN: 1
; COMPUTE_PGM_RSRC2:TGID_Y_EN: 0
; COMPUTE_PGM_RSRC2:TGID_Z_EN: 0
; COMPUTE_PGM_RSRC2:TIDIG_COMP_CNT: 0
	.section	.text._ZN4RAJA8internal22HipKernelLauncherFixedILi256ENS0_8LoopDataIN4camp5tupleIJNS_4SpanINS_9Iterators16numeric_iteratorIllPlEElEESA_EEENS4_IJdEEENS3_9resources2v13HipEJZZN8rajaperf9polybench13POLYBENCH_MVT17runHipVariantImplILm256EEEvNSG_9VariantIDEENKUlvE_clEvEUlRdE0_ZZNSJ_ILm256EEEvSK_ENKSL_clEvEUlllSM_E0_ZZNSJ_ILm256EEEvSK_ENKSL_clEvEUllSM_E0_EEENS0_24HipStatementListExecutorISQ_NS3_4listIJNS_9statement3ForILl0ENS_6policy3hip11hip_indexerINS_17iteration_mapping6DirectELNS_23kernel_sync_requirementE0EJNS_3hip11IndexGlobalILNS_9named_dimE0ELi256ELi0EEEEEEJNST_6LambdaILl0EJNSS_IJNS0_9LambdaArgINS0_18lambda_arg_param_tELl0EEEEEEEEENSU_ILl1ENSV_10sequential8seq_execEJNS16_ILl1EJNSS_IJNS17_INS0_16lambda_arg_seg_tELl0EEENS17_IS1E_Ll1EEEEEES1A_EEEEEENS16_ILl2EJNSS_IJS1F_EEES1A_EEEEEEEEENS0_9LoopTypesINSS_IJvvEEES1P_EEEEEEvT0_,"axG",@progbits,_ZN4RAJA8internal22HipKernelLauncherFixedILi256ENS0_8LoopDataIN4camp5tupleIJNS_4SpanINS_9Iterators16numeric_iteratorIllPlEElEESA_EEENS4_IJdEEENS3_9resources2v13HipEJZZN8rajaperf9polybench13POLYBENCH_MVT17runHipVariantImplILm256EEEvNSG_9VariantIDEENKUlvE_clEvEUlRdE0_ZZNSJ_ILm256EEEvSK_ENKSL_clEvEUlllSM_E0_ZZNSJ_ILm256EEEvSK_ENKSL_clEvEUllSM_E0_EEENS0_24HipStatementListExecutorISQ_NS3_4listIJNS_9statement3ForILl0ENS_6policy3hip11hip_indexerINS_17iteration_mapping6DirectELNS_23kernel_sync_requirementE0EJNS_3hip11IndexGlobalILNS_9named_dimE0ELi256ELi0EEEEEEJNST_6LambdaILl0EJNSS_IJNS0_9LambdaArgINS0_18lambda_arg_param_tELl0EEEEEEEEENSU_ILl1ENSV_10sequential8seq_execEJNS16_ILl1EJNSS_IJNS17_INS0_16lambda_arg_seg_tELl0EEENS17_IS1E_Ll1EEEEEES1A_EEEEEENS16_ILl2EJNSS_IJS1F_EEES1A_EEEEEEEEENS0_9LoopTypesINSS_IJvvEEES1P_EEEEEEvT0_,comdat
	.protected	_ZN4RAJA8internal22HipKernelLauncherFixedILi256ENS0_8LoopDataIN4camp5tupleIJNS_4SpanINS_9Iterators16numeric_iteratorIllPlEElEESA_EEENS4_IJdEEENS3_9resources2v13HipEJZZN8rajaperf9polybench13POLYBENCH_MVT17runHipVariantImplILm256EEEvNSG_9VariantIDEENKUlvE_clEvEUlRdE0_ZZNSJ_ILm256EEEvSK_ENKSL_clEvEUlllSM_E0_ZZNSJ_ILm256EEEvSK_ENKSL_clEvEUllSM_E0_EEENS0_24HipStatementListExecutorISQ_NS3_4listIJNS_9statement3ForILl0ENS_6policy3hip11hip_indexerINS_17iteration_mapping6DirectELNS_23kernel_sync_requirementE0EJNS_3hip11IndexGlobalILNS_9named_dimE0ELi256ELi0EEEEEEJNST_6LambdaILl0EJNSS_IJNS0_9LambdaArgINS0_18lambda_arg_param_tELl0EEEEEEEEENSU_ILl1ENSV_10sequential8seq_execEJNS16_ILl1EJNSS_IJNS17_INS0_16lambda_arg_seg_tELl0EEENS17_IS1E_Ll1EEEEEES1A_EEEEEENS16_ILl2EJNSS_IJS1F_EEES1A_EEEEEEEEENS0_9LoopTypesINSS_IJvvEEES1P_EEEEEEvT0_ ; -- Begin function _ZN4RAJA8internal22HipKernelLauncherFixedILi256ENS0_8LoopDataIN4camp5tupleIJNS_4SpanINS_9Iterators16numeric_iteratorIllPlEElEESA_EEENS4_IJdEEENS3_9resources2v13HipEJZZN8rajaperf9polybench13POLYBENCH_MVT17runHipVariantImplILm256EEEvNSG_9VariantIDEENKUlvE_clEvEUlRdE0_ZZNSJ_ILm256EEEvSK_ENKSL_clEvEUlllSM_E0_ZZNSJ_ILm256EEEvSK_ENKSL_clEvEUllSM_E0_EEENS0_24HipStatementListExecutorISQ_NS3_4listIJNS_9statement3ForILl0ENS_6policy3hip11hip_indexerINS_17iteration_mapping6DirectELNS_23kernel_sync_requirementE0EJNS_3hip11IndexGlobalILNS_9named_dimE0ELi256ELi0EEEEEEJNST_6LambdaILl0EJNSS_IJNS0_9LambdaArgINS0_18lambda_arg_param_tELl0EEEEEEEEENSU_ILl1ENSV_10sequential8seq_execEJNS16_ILl1EJNSS_IJNS17_INS0_16lambda_arg_seg_tELl0EEENS17_IS1E_Ll1EEEEEES1A_EEEEEENS16_ILl2EJNSS_IJS1F_EEES1A_EEEEEEEEENS0_9LoopTypesINSS_IJvvEEES1P_EEEEEEvT0_
	.globl	_ZN4RAJA8internal22HipKernelLauncherFixedILi256ENS0_8LoopDataIN4camp5tupleIJNS_4SpanINS_9Iterators16numeric_iteratorIllPlEElEESA_EEENS4_IJdEEENS3_9resources2v13HipEJZZN8rajaperf9polybench13POLYBENCH_MVT17runHipVariantImplILm256EEEvNSG_9VariantIDEENKUlvE_clEvEUlRdE0_ZZNSJ_ILm256EEEvSK_ENKSL_clEvEUlllSM_E0_ZZNSJ_ILm256EEEvSK_ENKSL_clEvEUllSM_E0_EEENS0_24HipStatementListExecutorISQ_NS3_4listIJNS_9statement3ForILl0ENS_6policy3hip11hip_indexerINS_17iteration_mapping6DirectELNS_23kernel_sync_requirementE0EJNS_3hip11IndexGlobalILNS_9named_dimE0ELi256ELi0EEEEEEJNST_6LambdaILl0EJNSS_IJNS0_9LambdaArgINS0_18lambda_arg_param_tELl0EEEEEEEEENSU_ILl1ENSV_10sequential8seq_execEJNS16_ILl1EJNSS_IJNS17_INS0_16lambda_arg_seg_tELl0EEENS17_IS1E_Ll1EEEEEES1A_EEEEEENS16_ILl2EJNSS_IJS1F_EEES1A_EEEEEEEEENS0_9LoopTypesINSS_IJvvEEES1P_EEEEEEvT0_
	.p2align	8
	.type	_ZN4RAJA8internal22HipKernelLauncherFixedILi256ENS0_8LoopDataIN4camp5tupleIJNS_4SpanINS_9Iterators16numeric_iteratorIllPlEElEESA_EEENS4_IJdEEENS3_9resources2v13HipEJZZN8rajaperf9polybench13POLYBENCH_MVT17runHipVariantImplILm256EEEvNSG_9VariantIDEENKUlvE_clEvEUlRdE0_ZZNSJ_ILm256EEEvSK_ENKSL_clEvEUlllSM_E0_ZZNSJ_ILm256EEEvSK_ENKSL_clEvEUllSM_E0_EEENS0_24HipStatementListExecutorISQ_NS3_4listIJNS_9statement3ForILl0ENS_6policy3hip11hip_indexerINS_17iteration_mapping6DirectELNS_23kernel_sync_requirementE0EJNS_3hip11IndexGlobalILNS_9named_dimE0ELi256ELi0EEEEEEJNST_6LambdaILl0EJNSS_IJNS0_9LambdaArgINS0_18lambda_arg_param_tELl0EEEEEEEEENSU_ILl1ENSV_10sequential8seq_execEJNS16_ILl1EJNSS_IJNS17_INS0_16lambda_arg_seg_tELl0EEENS17_IS1E_Ll1EEEEEES1A_EEEEEENS16_ILl2EJNSS_IJS1F_EEES1A_EEEEEEEEENS0_9LoopTypesINSS_IJvvEEES1P_EEEEEEvT0_,@function
_ZN4RAJA8internal22HipKernelLauncherFixedILi256ENS0_8LoopDataIN4camp5tupleIJNS_4SpanINS_9Iterators16numeric_iteratorIllPlEElEESA_EEENS4_IJdEEENS3_9resources2v13HipEJZZN8rajaperf9polybench13POLYBENCH_MVT17runHipVariantImplILm256EEEvNSG_9VariantIDEENKUlvE_clEvEUlRdE0_ZZNSJ_ILm256EEEvSK_ENKSL_clEvEUlllSM_E0_ZZNSJ_ILm256EEEvSK_ENKSL_clEvEUllSM_E0_EEENS0_24HipStatementListExecutorISQ_NS3_4listIJNS_9statement3ForILl0ENS_6policy3hip11hip_indexerINS_17iteration_mapping6DirectELNS_23kernel_sync_requirementE0EJNS_3hip11IndexGlobalILNS_9named_dimE0ELi256ELi0EEEEEEJNST_6LambdaILl0EJNSS_IJNS0_9LambdaArgINS0_18lambda_arg_param_tELl0EEEEEEEEENSU_ILl1ENSV_10sequential8seq_execEJNS16_ILl1EJNSS_IJNS17_INS0_16lambda_arg_seg_tELl0EEENS17_IS1E_Ll1EEEEEES1A_EEEEEENS16_ILl2EJNSS_IJS1F_EEES1A_EEEEEEEEENS0_9LoopTypesINSS_IJvvEEES1P_EEEEEEvT0_: ; @_ZN4RAJA8internal22HipKernelLauncherFixedILi256ENS0_8LoopDataIN4camp5tupleIJNS_4SpanINS_9Iterators16numeric_iteratorIllPlEElEESA_EEENS4_IJdEEENS3_9resources2v13HipEJZZN8rajaperf9polybench13POLYBENCH_MVT17runHipVariantImplILm256EEEvNSG_9VariantIDEENKUlvE_clEvEUlRdE0_ZZNSJ_ILm256EEEvSK_ENKSL_clEvEUlllSM_E0_ZZNSJ_ILm256EEEvSK_ENKSL_clEvEUllSM_E0_EEENS0_24HipStatementListExecutorISQ_NS3_4listIJNS_9statement3ForILl0ENS_6policy3hip11hip_indexerINS_17iteration_mapping6DirectELNS_23kernel_sync_requirementE0EJNS_3hip11IndexGlobalILNS_9named_dimE0ELi256ELi0EEEEEEJNST_6LambdaILl0EJNSS_IJNS0_9LambdaArgINS0_18lambda_arg_param_tELl0EEEEEEEEENSU_ILl1ENSV_10sequential8seq_execEJNS16_ILl1EJNSS_IJNS17_INS0_16lambda_arg_seg_tELl0EEENS17_IS1E_Ll1EEEEEES1A_EEEEEENS16_ILl2EJNSS_IJS1F_EEES1A_EEEEEEEEENS0_9LoopTypesINSS_IJvvEEES1P_EEEEEEvT0_
; %bb.0:
	s_load_dwordx8 s[8:15], s[4:5], 0x0
	s_load_dwordx2 s[2:3], s[4:5], 0x20
	s_load_dwordx2 s[16:17], s[4:5], 0xa8
	s_mov_b32 s7, 0
	s_waitcnt lgkmcnt(0)
	s_sub_u32 s0, s10, s8
	s_subb_u32 s1, s11, s9
	s_lshl_b64 s[6:7], s[6:7], 8
	v_or_b32_e32 v2, s6, v0
	v_mov_b32_e32 v3, s7
	v_cmp_gt_i64_e64 s[0:1], s[0:1], v[2:3]
	v_mov_b32_e32 v0, s3
	v_cndmask_b32_e64 v1, v0, 0, s[0:1]
	v_mov_b32_e32 v0, s2
	s_sub_u32 s2, s14, s12
	s_subb_u32 s3, s15, s13
	v_cmp_lt_i64_e64 s[6:7], s[2:3], 1
	v_cndmask_b32_e64 v0, v0, 0, s[0:1]
	s_and_b64 vcc, exec, s[6:7]
	s_cbranch_vccnz .LBB3_5
; %bb.1:
	s_load_dwordx2 s[6:7], s[4:5], 0x50
	s_load_dwordx2 s[10:11], s[4:5], 0x80
	;; [unrolled: 1-line block ×3, first 2 shown]
	v_mov_b32_e32 v5, s9
	v_add_co_u32_e32 v4, vcc, s8, v2
	s_waitcnt lgkmcnt(0)
	s_mul_i32 s4, s12, s7
	s_mul_hi_u32 s5, s12, s6
	v_addc_co_u32_e32 v5, vcc, v5, v3, vcc
	s_add_i32 s4, s5, s4
	s_mul_i32 s5, s13, s6
	v_lshlrev_b64 v[6:7], 3, v[4:5]
	s_add_i32 s5, s4, s5
	s_mul_i32 s4, s12, s6
	s_lshl_b64 s[4:5], s[4:5], 3
	v_mov_b32_e32 v5, s11
	v_add_co_u32_e32 v4, vcc, s10, v6
	s_add_u32 s4, s14, s4
	v_addc_co_u32_e32 v5, vcc, v5, v7, vcc
	s_addc_u32 s5, s15, s5
	v_mov_b32_e32 v8, s5
	v_add_co_u32_e32 v6, vcc, s4, v6
	v_addc_co_u32_e32 v7, vcc, v8, v7, vcc
	s_lshl_b64 s[4:5], s[6:7], 3
	v_mov_b32_e32 v9, s3
	s_mov_b64 s[6:7], 0
	v_mov_b32_e32 v10, s5
	v_mov_b32_e32 v8, s2
	s_branch .LBB3_3
.LBB3_2:                                ;   in Loop: Header=BB3_3 Depth=1
	s_or_b64 exec, exec, s[2:3]
	s_add_u32 s6, s6, 1
	s_addc_u32 s7, s7, 0
	v_cmp_lt_i64_e32 vcc, s[6:7], v[8:9]
	v_add_co_u32_e64 v6, s[2:3], s4, v6
	v_addc_co_u32_e64 v7, s[2:3], v7, v10, s[2:3]
	s_cbranch_vccz .LBB3_5
.LBB3_3:                                ; =>This Inner Loop Header: Depth=1
	s_and_saveexec_b64 s[2:3], s[0:1]
	s_cbranch_execz .LBB3_2
; %bb.4:                                ;   in Loop: Header=BB3_3 Depth=1
	global_load_dwordx2 v[11:12], v[6:7], off
	global_load_dwordx2 v[13:14], v[4:5], off
	s_waitcnt vmcnt(0)
	v_fma_f64 v[0:1], v[11:12], v[13:14], v[0:1]
	s_branch .LBB3_2
.LBB3_5:
	s_and_saveexec_b64 s[2:3], s[0:1]
	s_cbranch_execz .LBB3_7
; %bb.6:
	v_lshlrev_b64 v[2:3], 3, v[2:3]
	v_mov_b32_e32 v4, s17
	v_add_co_u32_e32 v2, vcc, s16, v2
	v_addc_co_u32_e32 v3, vcc, v4, v3, vcc
	s_lshl_b64 s[0:1], s[8:9], 3
	v_mov_b32_e32 v4, s1
	v_add_co_u32_e32 v2, vcc, s0, v2
	v_addc_co_u32_e32 v3, vcc, v3, v4, vcc
	global_store_dwordx2 v[2:3], v[0:1], off
.LBB3_7:
	s_endpgm
	.section	.rodata,"a",@progbits
	.p2align	6, 0x0
	.amdhsa_kernel _ZN4RAJA8internal22HipKernelLauncherFixedILi256ENS0_8LoopDataIN4camp5tupleIJNS_4SpanINS_9Iterators16numeric_iteratorIllPlEElEESA_EEENS4_IJdEEENS3_9resources2v13HipEJZZN8rajaperf9polybench13POLYBENCH_MVT17runHipVariantImplILm256EEEvNSG_9VariantIDEENKUlvE_clEvEUlRdE0_ZZNSJ_ILm256EEEvSK_ENKSL_clEvEUlllSM_E0_ZZNSJ_ILm256EEEvSK_ENKSL_clEvEUllSM_E0_EEENS0_24HipStatementListExecutorISQ_NS3_4listIJNS_9statement3ForILl0ENS_6policy3hip11hip_indexerINS_17iteration_mapping6DirectELNS_23kernel_sync_requirementE0EJNS_3hip11IndexGlobalILNS_9named_dimE0ELi256ELi0EEEEEEJNST_6LambdaILl0EJNSS_IJNS0_9LambdaArgINS0_18lambda_arg_param_tELl0EEEEEEEEENSU_ILl1ENSV_10sequential8seq_execEJNS16_ILl1EJNSS_IJNS17_INS0_16lambda_arg_seg_tELl0EEENS17_IS1E_Ll1EEEEEES1A_EEEEEENS16_ILl2EJNSS_IJS1F_EEES1A_EEEEEEEEENS0_9LoopTypesINSS_IJvvEEES1P_EEEEEEvT0_
		.amdhsa_group_segment_fixed_size 0
		.amdhsa_private_segment_fixed_size 0
		.amdhsa_kernarg_size 232
		.amdhsa_user_sgpr_count 6
		.amdhsa_user_sgpr_private_segment_buffer 1
		.amdhsa_user_sgpr_dispatch_ptr 0
		.amdhsa_user_sgpr_queue_ptr 0
		.amdhsa_user_sgpr_kernarg_segment_ptr 1
		.amdhsa_user_sgpr_dispatch_id 0
		.amdhsa_user_sgpr_flat_scratch_init 0
		.amdhsa_user_sgpr_private_segment_size 0
		.amdhsa_uses_dynamic_stack 0
		.amdhsa_system_sgpr_private_segment_wavefront_offset 0
		.amdhsa_system_sgpr_workgroup_id_x 1
		.amdhsa_system_sgpr_workgroup_id_y 0
		.amdhsa_system_sgpr_workgroup_id_z 0
		.amdhsa_system_sgpr_workgroup_info 0
		.amdhsa_system_vgpr_workitem_id 0
		.amdhsa_next_free_vgpr 15
		.amdhsa_next_free_sgpr 18
		.amdhsa_reserve_vcc 1
		.amdhsa_reserve_flat_scratch 0
		.amdhsa_float_round_mode_32 0
		.amdhsa_float_round_mode_16_64 0
		.amdhsa_float_denorm_mode_32 3
		.amdhsa_float_denorm_mode_16_64 3
		.amdhsa_dx10_clamp 1
		.amdhsa_ieee_mode 1
		.amdhsa_fp16_overflow 0
		.amdhsa_exception_fp_ieee_invalid_op 0
		.amdhsa_exception_fp_denorm_src 0
		.amdhsa_exception_fp_ieee_div_zero 0
		.amdhsa_exception_fp_ieee_overflow 0
		.amdhsa_exception_fp_ieee_underflow 0
		.amdhsa_exception_fp_ieee_inexact 0
		.amdhsa_exception_int_div_zero 0
	.end_amdhsa_kernel
	.section	.text._ZN4RAJA8internal22HipKernelLauncherFixedILi256ENS0_8LoopDataIN4camp5tupleIJNS_4SpanINS_9Iterators16numeric_iteratorIllPlEElEESA_EEENS4_IJdEEENS3_9resources2v13HipEJZZN8rajaperf9polybench13POLYBENCH_MVT17runHipVariantImplILm256EEEvNSG_9VariantIDEENKUlvE_clEvEUlRdE0_ZZNSJ_ILm256EEEvSK_ENKSL_clEvEUlllSM_E0_ZZNSJ_ILm256EEEvSK_ENKSL_clEvEUllSM_E0_EEENS0_24HipStatementListExecutorISQ_NS3_4listIJNS_9statement3ForILl0ENS_6policy3hip11hip_indexerINS_17iteration_mapping6DirectELNS_23kernel_sync_requirementE0EJNS_3hip11IndexGlobalILNS_9named_dimE0ELi256ELi0EEEEEEJNST_6LambdaILl0EJNSS_IJNS0_9LambdaArgINS0_18lambda_arg_param_tELl0EEEEEEEEENSU_ILl1ENSV_10sequential8seq_execEJNS16_ILl1EJNSS_IJNS17_INS0_16lambda_arg_seg_tELl0EEENS17_IS1E_Ll1EEEEEES1A_EEEEEENS16_ILl2EJNSS_IJS1F_EEES1A_EEEEEEEEENS0_9LoopTypesINSS_IJvvEEES1P_EEEEEEvT0_,"axG",@progbits,_ZN4RAJA8internal22HipKernelLauncherFixedILi256ENS0_8LoopDataIN4camp5tupleIJNS_4SpanINS_9Iterators16numeric_iteratorIllPlEElEESA_EEENS4_IJdEEENS3_9resources2v13HipEJZZN8rajaperf9polybench13POLYBENCH_MVT17runHipVariantImplILm256EEEvNSG_9VariantIDEENKUlvE_clEvEUlRdE0_ZZNSJ_ILm256EEEvSK_ENKSL_clEvEUlllSM_E0_ZZNSJ_ILm256EEEvSK_ENKSL_clEvEUllSM_E0_EEENS0_24HipStatementListExecutorISQ_NS3_4listIJNS_9statement3ForILl0ENS_6policy3hip11hip_indexerINS_17iteration_mapping6DirectELNS_23kernel_sync_requirementE0EJNS_3hip11IndexGlobalILNS_9named_dimE0ELi256ELi0EEEEEEJNST_6LambdaILl0EJNSS_IJNS0_9LambdaArgINS0_18lambda_arg_param_tELl0EEEEEEEEENSU_ILl1ENSV_10sequential8seq_execEJNS16_ILl1EJNSS_IJNS17_INS0_16lambda_arg_seg_tELl0EEENS17_IS1E_Ll1EEEEEES1A_EEEEEENS16_ILl2EJNSS_IJS1F_EEES1A_EEEEEEEEENS0_9LoopTypesINSS_IJvvEEES1P_EEEEEEvT0_,comdat
.Lfunc_end3:
	.size	_ZN4RAJA8internal22HipKernelLauncherFixedILi256ENS0_8LoopDataIN4camp5tupleIJNS_4SpanINS_9Iterators16numeric_iteratorIllPlEElEESA_EEENS4_IJdEEENS3_9resources2v13HipEJZZN8rajaperf9polybench13POLYBENCH_MVT17runHipVariantImplILm256EEEvNSG_9VariantIDEENKUlvE_clEvEUlRdE0_ZZNSJ_ILm256EEEvSK_ENKSL_clEvEUlllSM_E0_ZZNSJ_ILm256EEEvSK_ENKSL_clEvEUllSM_E0_EEENS0_24HipStatementListExecutorISQ_NS3_4listIJNS_9statement3ForILl0ENS_6policy3hip11hip_indexerINS_17iteration_mapping6DirectELNS_23kernel_sync_requirementE0EJNS_3hip11IndexGlobalILNS_9named_dimE0ELi256ELi0EEEEEEJNST_6LambdaILl0EJNSS_IJNS0_9LambdaArgINS0_18lambda_arg_param_tELl0EEEEEEEEENSU_ILl1ENSV_10sequential8seq_execEJNS16_ILl1EJNSS_IJNS17_INS0_16lambda_arg_seg_tELl0EEENS17_IS1E_Ll1EEEEEES1A_EEEEEENS16_ILl2EJNSS_IJS1F_EEES1A_EEEEEEEEENS0_9LoopTypesINSS_IJvvEEES1P_EEEEEEvT0_, .Lfunc_end3-_ZN4RAJA8internal22HipKernelLauncherFixedILi256ENS0_8LoopDataIN4camp5tupleIJNS_4SpanINS_9Iterators16numeric_iteratorIllPlEElEESA_EEENS4_IJdEEENS3_9resources2v13HipEJZZN8rajaperf9polybench13POLYBENCH_MVT17runHipVariantImplILm256EEEvNSG_9VariantIDEENKUlvE_clEvEUlRdE0_ZZNSJ_ILm256EEEvSK_ENKSL_clEvEUlllSM_E0_ZZNSJ_ILm256EEEvSK_ENKSL_clEvEUllSM_E0_EEENS0_24HipStatementListExecutorISQ_NS3_4listIJNS_9statement3ForILl0ENS_6policy3hip11hip_indexerINS_17iteration_mapping6DirectELNS_23kernel_sync_requirementE0EJNS_3hip11IndexGlobalILNS_9named_dimE0ELi256ELi0EEEEEEJNST_6LambdaILl0EJNSS_IJNS0_9LambdaArgINS0_18lambda_arg_param_tELl0EEEEEEEEENSU_ILl1ENSV_10sequential8seq_execEJNS16_ILl1EJNSS_IJNS17_INS0_16lambda_arg_seg_tELl0EEENS17_IS1E_Ll1EEEEEES1A_EEEEEENS16_ILl2EJNSS_IJS1F_EEES1A_EEEEEEEEENS0_9LoopTypesINSS_IJvvEEES1P_EEEEEEvT0_
                                        ; -- End function
	.set _ZN4RAJA8internal22HipKernelLauncherFixedILi256ENS0_8LoopDataIN4camp5tupleIJNS_4SpanINS_9Iterators16numeric_iteratorIllPlEElEESA_EEENS4_IJdEEENS3_9resources2v13HipEJZZN8rajaperf9polybench13POLYBENCH_MVT17runHipVariantImplILm256EEEvNSG_9VariantIDEENKUlvE_clEvEUlRdE0_ZZNSJ_ILm256EEEvSK_ENKSL_clEvEUlllSM_E0_ZZNSJ_ILm256EEEvSK_ENKSL_clEvEUllSM_E0_EEENS0_24HipStatementListExecutorISQ_NS3_4listIJNS_9statement3ForILl0ENS_6policy3hip11hip_indexerINS_17iteration_mapping6DirectELNS_23kernel_sync_requirementE0EJNS_3hip11IndexGlobalILNS_9named_dimE0ELi256ELi0EEEEEEJNST_6LambdaILl0EJNSS_IJNS0_9LambdaArgINS0_18lambda_arg_param_tELl0EEEEEEEEENSU_ILl1ENSV_10sequential8seq_execEJNS16_ILl1EJNSS_IJNS17_INS0_16lambda_arg_seg_tELl0EEENS17_IS1E_Ll1EEEEEES1A_EEEEEENS16_ILl2EJNSS_IJS1F_EEES1A_EEEEEEEEENS0_9LoopTypesINSS_IJvvEEES1P_EEEEEEvT0_.num_vgpr, 15
	.set _ZN4RAJA8internal22HipKernelLauncherFixedILi256ENS0_8LoopDataIN4camp5tupleIJNS_4SpanINS_9Iterators16numeric_iteratorIllPlEElEESA_EEENS4_IJdEEENS3_9resources2v13HipEJZZN8rajaperf9polybench13POLYBENCH_MVT17runHipVariantImplILm256EEEvNSG_9VariantIDEENKUlvE_clEvEUlRdE0_ZZNSJ_ILm256EEEvSK_ENKSL_clEvEUlllSM_E0_ZZNSJ_ILm256EEEvSK_ENKSL_clEvEUllSM_E0_EEENS0_24HipStatementListExecutorISQ_NS3_4listIJNS_9statement3ForILl0ENS_6policy3hip11hip_indexerINS_17iteration_mapping6DirectELNS_23kernel_sync_requirementE0EJNS_3hip11IndexGlobalILNS_9named_dimE0ELi256ELi0EEEEEEJNST_6LambdaILl0EJNSS_IJNS0_9LambdaArgINS0_18lambda_arg_param_tELl0EEEEEEEEENSU_ILl1ENSV_10sequential8seq_execEJNS16_ILl1EJNSS_IJNS17_INS0_16lambda_arg_seg_tELl0EEENS17_IS1E_Ll1EEEEEES1A_EEEEEENS16_ILl2EJNSS_IJS1F_EEES1A_EEEEEEEEENS0_9LoopTypesINSS_IJvvEEES1P_EEEEEEvT0_.num_agpr, 0
	.set _ZN4RAJA8internal22HipKernelLauncherFixedILi256ENS0_8LoopDataIN4camp5tupleIJNS_4SpanINS_9Iterators16numeric_iteratorIllPlEElEESA_EEENS4_IJdEEENS3_9resources2v13HipEJZZN8rajaperf9polybench13POLYBENCH_MVT17runHipVariantImplILm256EEEvNSG_9VariantIDEENKUlvE_clEvEUlRdE0_ZZNSJ_ILm256EEEvSK_ENKSL_clEvEUlllSM_E0_ZZNSJ_ILm256EEEvSK_ENKSL_clEvEUllSM_E0_EEENS0_24HipStatementListExecutorISQ_NS3_4listIJNS_9statement3ForILl0ENS_6policy3hip11hip_indexerINS_17iteration_mapping6DirectELNS_23kernel_sync_requirementE0EJNS_3hip11IndexGlobalILNS_9named_dimE0ELi256ELi0EEEEEEJNST_6LambdaILl0EJNSS_IJNS0_9LambdaArgINS0_18lambda_arg_param_tELl0EEEEEEEEENSU_ILl1ENSV_10sequential8seq_execEJNS16_ILl1EJNSS_IJNS17_INS0_16lambda_arg_seg_tELl0EEENS17_IS1E_Ll1EEEEEES1A_EEEEEENS16_ILl2EJNSS_IJS1F_EEES1A_EEEEEEEEENS0_9LoopTypesINSS_IJvvEEES1P_EEEEEEvT0_.numbered_sgpr, 18
	.set _ZN4RAJA8internal22HipKernelLauncherFixedILi256ENS0_8LoopDataIN4camp5tupleIJNS_4SpanINS_9Iterators16numeric_iteratorIllPlEElEESA_EEENS4_IJdEEENS3_9resources2v13HipEJZZN8rajaperf9polybench13POLYBENCH_MVT17runHipVariantImplILm256EEEvNSG_9VariantIDEENKUlvE_clEvEUlRdE0_ZZNSJ_ILm256EEEvSK_ENKSL_clEvEUlllSM_E0_ZZNSJ_ILm256EEEvSK_ENKSL_clEvEUllSM_E0_EEENS0_24HipStatementListExecutorISQ_NS3_4listIJNS_9statement3ForILl0ENS_6policy3hip11hip_indexerINS_17iteration_mapping6DirectELNS_23kernel_sync_requirementE0EJNS_3hip11IndexGlobalILNS_9named_dimE0ELi256ELi0EEEEEEJNST_6LambdaILl0EJNSS_IJNS0_9LambdaArgINS0_18lambda_arg_param_tELl0EEEEEEEEENSU_ILl1ENSV_10sequential8seq_execEJNS16_ILl1EJNSS_IJNS17_INS0_16lambda_arg_seg_tELl0EEENS17_IS1E_Ll1EEEEEES1A_EEEEEENS16_ILl2EJNSS_IJS1F_EEES1A_EEEEEEEEENS0_9LoopTypesINSS_IJvvEEES1P_EEEEEEvT0_.num_named_barrier, 0
	.set _ZN4RAJA8internal22HipKernelLauncherFixedILi256ENS0_8LoopDataIN4camp5tupleIJNS_4SpanINS_9Iterators16numeric_iteratorIllPlEElEESA_EEENS4_IJdEEENS3_9resources2v13HipEJZZN8rajaperf9polybench13POLYBENCH_MVT17runHipVariantImplILm256EEEvNSG_9VariantIDEENKUlvE_clEvEUlRdE0_ZZNSJ_ILm256EEEvSK_ENKSL_clEvEUlllSM_E0_ZZNSJ_ILm256EEEvSK_ENKSL_clEvEUllSM_E0_EEENS0_24HipStatementListExecutorISQ_NS3_4listIJNS_9statement3ForILl0ENS_6policy3hip11hip_indexerINS_17iteration_mapping6DirectELNS_23kernel_sync_requirementE0EJNS_3hip11IndexGlobalILNS_9named_dimE0ELi256ELi0EEEEEEJNST_6LambdaILl0EJNSS_IJNS0_9LambdaArgINS0_18lambda_arg_param_tELl0EEEEEEEEENSU_ILl1ENSV_10sequential8seq_execEJNS16_ILl1EJNSS_IJNS17_INS0_16lambda_arg_seg_tELl0EEENS17_IS1E_Ll1EEEEEES1A_EEEEEENS16_ILl2EJNSS_IJS1F_EEES1A_EEEEEEEEENS0_9LoopTypesINSS_IJvvEEES1P_EEEEEEvT0_.private_seg_size, 0
	.set _ZN4RAJA8internal22HipKernelLauncherFixedILi256ENS0_8LoopDataIN4camp5tupleIJNS_4SpanINS_9Iterators16numeric_iteratorIllPlEElEESA_EEENS4_IJdEEENS3_9resources2v13HipEJZZN8rajaperf9polybench13POLYBENCH_MVT17runHipVariantImplILm256EEEvNSG_9VariantIDEENKUlvE_clEvEUlRdE0_ZZNSJ_ILm256EEEvSK_ENKSL_clEvEUlllSM_E0_ZZNSJ_ILm256EEEvSK_ENKSL_clEvEUllSM_E0_EEENS0_24HipStatementListExecutorISQ_NS3_4listIJNS_9statement3ForILl0ENS_6policy3hip11hip_indexerINS_17iteration_mapping6DirectELNS_23kernel_sync_requirementE0EJNS_3hip11IndexGlobalILNS_9named_dimE0ELi256ELi0EEEEEEJNST_6LambdaILl0EJNSS_IJNS0_9LambdaArgINS0_18lambda_arg_param_tELl0EEEEEEEEENSU_ILl1ENSV_10sequential8seq_execEJNS16_ILl1EJNSS_IJNS17_INS0_16lambda_arg_seg_tELl0EEENS17_IS1E_Ll1EEEEEES1A_EEEEEENS16_ILl2EJNSS_IJS1F_EEES1A_EEEEEEEEENS0_9LoopTypesINSS_IJvvEEES1P_EEEEEEvT0_.uses_vcc, 1
	.set _ZN4RAJA8internal22HipKernelLauncherFixedILi256ENS0_8LoopDataIN4camp5tupleIJNS_4SpanINS_9Iterators16numeric_iteratorIllPlEElEESA_EEENS4_IJdEEENS3_9resources2v13HipEJZZN8rajaperf9polybench13POLYBENCH_MVT17runHipVariantImplILm256EEEvNSG_9VariantIDEENKUlvE_clEvEUlRdE0_ZZNSJ_ILm256EEEvSK_ENKSL_clEvEUlllSM_E0_ZZNSJ_ILm256EEEvSK_ENKSL_clEvEUllSM_E0_EEENS0_24HipStatementListExecutorISQ_NS3_4listIJNS_9statement3ForILl0ENS_6policy3hip11hip_indexerINS_17iteration_mapping6DirectELNS_23kernel_sync_requirementE0EJNS_3hip11IndexGlobalILNS_9named_dimE0ELi256ELi0EEEEEEJNST_6LambdaILl0EJNSS_IJNS0_9LambdaArgINS0_18lambda_arg_param_tELl0EEEEEEEEENSU_ILl1ENSV_10sequential8seq_execEJNS16_ILl1EJNSS_IJNS17_INS0_16lambda_arg_seg_tELl0EEENS17_IS1E_Ll1EEEEEES1A_EEEEEENS16_ILl2EJNSS_IJS1F_EEES1A_EEEEEEEEENS0_9LoopTypesINSS_IJvvEEES1P_EEEEEEvT0_.uses_flat_scratch, 0
	.set _ZN4RAJA8internal22HipKernelLauncherFixedILi256ENS0_8LoopDataIN4camp5tupleIJNS_4SpanINS_9Iterators16numeric_iteratorIllPlEElEESA_EEENS4_IJdEEENS3_9resources2v13HipEJZZN8rajaperf9polybench13POLYBENCH_MVT17runHipVariantImplILm256EEEvNSG_9VariantIDEENKUlvE_clEvEUlRdE0_ZZNSJ_ILm256EEEvSK_ENKSL_clEvEUlllSM_E0_ZZNSJ_ILm256EEEvSK_ENKSL_clEvEUllSM_E0_EEENS0_24HipStatementListExecutorISQ_NS3_4listIJNS_9statement3ForILl0ENS_6policy3hip11hip_indexerINS_17iteration_mapping6DirectELNS_23kernel_sync_requirementE0EJNS_3hip11IndexGlobalILNS_9named_dimE0ELi256ELi0EEEEEEJNST_6LambdaILl0EJNSS_IJNS0_9LambdaArgINS0_18lambda_arg_param_tELl0EEEEEEEEENSU_ILl1ENSV_10sequential8seq_execEJNS16_ILl1EJNSS_IJNS17_INS0_16lambda_arg_seg_tELl0EEENS17_IS1E_Ll1EEEEEES1A_EEEEEENS16_ILl2EJNSS_IJS1F_EEES1A_EEEEEEEEENS0_9LoopTypesINSS_IJvvEEES1P_EEEEEEvT0_.has_dyn_sized_stack, 0
	.set _ZN4RAJA8internal22HipKernelLauncherFixedILi256ENS0_8LoopDataIN4camp5tupleIJNS_4SpanINS_9Iterators16numeric_iteratorIllPlEElEESA_EEENS4_IJdEEENS3_9resources2v13HipEJZZN8rajaperf9polybench13POLYBENCH_MVT17runHipVariantImplILm256EEEvNSG_9VariantIDEENKUlvE_clEvEUlRdE0_ZZNSJ_ILm256EEEvSK_ENKSL_clEvEUlllSM_E0_ZZNSJ_ILm256EEEvSK_ENKSL_clEvEUllSM_E0_EEENS0_24HipStatementListExecutorISQ_NS3_4listIJNS_9statement3ForILl0ENS_6policy3hip11hip_indexerINS_17iteration_mapping6DirectELNS_23kernel_sync_requirementE0EJNS_3hip11IndexGlobalILNS_9named_dimE0ELi256ELi0EEEEEEJNST_6LambdaILl0EJNSS_IJNS0_9LambdaArgINS0_18lambda_arg_param_tELl0EEEEEEEEENSU_ILl1ENSV_10sequential8seq_execEJNS16_ILl1EJNSS_IJNS17_INS0_16lambda_arg_seg_tELl0EEENS17_IS1E_Ll1EEEEEES1A_EEEEEENS16_ILl2EJNSS_IJS1F_EEES1A_EEEEEEEEENS0_9LoopTypesINSS_IJvvEEES1P_EEEEEEvT0_.has_recursion, 0
	.set _ZN4RAJA8internal22HipKernelLauncherFixedILi256ENS0_8LoopDataIN4camp5tupleIJNS_4SpanINS_9Iterators16numeric_iteratorIllPlEElEESA_EEENS4_IJdEEENS3_9resources2v13HipEJZZN8rajaperf9polybench13POLYBENCH_MVT17runHipVariantImplILm256EEEvNSG_9VariantIDEENKUlvE_clEvEUlRdE0_ZZNSJ_ILm256EEEvSK_ENKSL_clEvEUlllSM_E0_ZZNSJ_ILm256EEEvSK_ENKSL_clEvEUllSM_E0_EEENS0_24HipStatementListExecutorISQ_NS3_4listIJNS_9statement3ForILl0ENS_6policy3hip11hip_indexerINS_17iteration_mapping6DirectELNS_23kernel_sync_requirementE0EJNS_3hip11IndexGlobalILNS_9named_dimE0ELi256ELi0EEEEEEJNST_6LambdaILl0EJNSS_IJNS0_9LambdaArgINS0_18lambda_arg_param_tELl0EEEEEEEEENSU_ILl1ENSV_10sequential8seq_execEJNS16_ILl1EJNSS_IJNS17_INS0_16lambda_arg_seg_tELl0EEENS17_IS1E_Ll1EEEEEES1A_EEEEEENS16_ILl2EJNSS_IJS1F_EEES1A_EEEEEEEEENS0_9LoopTypesINSS_IJvvEEES1P_EEEEEEvT0_.has_indirect_call, 0
	.section	.AMDGPU.csdata,"",@progbits
; Kernel info:
; codeLenInByte = 372
; TotalNumSgprs: 22
; NumVgprs: 15
; ScratchSize: 0
; MemoryBound: 1
; FloatMode: 240
; IeeeMode: 1
; LDSByteSize: 0 bytes/workgroup (compile time only)
; SGPRBlocks: 2
; VGPRBlocks: 3
; NumSGPRsForWavesPerEU: 22
; NumVGPRsForWavesPerEU: 15
; Occupancy: 10
; WaveLimiterHint : 0
; COMPUTE_PGM_RSRC2:SCRATCH_EN: 0
; COMPUTE_PGM_RSRC2:USER_SGPR: 6
; COMPUTE_PGM_RSRC2:TRAP_HANDLER: 0
; COMPUTE_PGM_RSRC2:TGID_X_EN: 1
; COMPUTE_PGM_RSRC2:TGID_Y_EN: 0
; COMPUTE_PGM_RSRC2:TGID_Z_EN: 0
; COMPUTE_PGM_RSRC2:TIDIG_COMP_CNT: 0
	.section	.AMDGPU.gpr_maximums,"",@progbits
	.set amdgpu.max_num_vgpr, 0
	.set amdgpu.max_num_agpr, 0
	.set amdgpu.max_num_sgpr, 0
	.section	.AMDGPU.csdata,"",@progbits
	.type	__hip_cuid_19e19a914b3113ad,@object ; @__hip_cuid_19e19a914b3113ad
	.section	.bss,"aw",@nobits
	.globl	__hip_cuid_19e19a914b3113ad
__hip_cuid_19e19a914b3113ad:
	.byte	0                               ; 0x0
	.size	__hip_cuid_19e19a914b3113ad, 1

	.ident	"AMD clang version 22.0.0git (https://github.com/RadeonOpenCompute/llvm-project roc-7.2.4 26084 f58b06dce1f9c15707c5f808fd002e18c2accf7e)"
	.section	".note.GNU-stack","",@progbits
	.addrsig
	.addrsig_sym __hip_cuid_19e19a914b3113ad
	.amdgpu_metadata
---
amdhsa.kernels:
  - .args:
      - .address_space:  global
        .offset:         0
        .size:           8
        .value_kind:     global_buffer
      - .address_space:  global
        .offset:         8
        .size:           8
        .value_kind:     global_buffer
      - .address_space:  global
        .offset:         16
        .size:           8
        .value_kind:     global_buffer
      - .offset:         24
        .size:           8
        .value_kind:     by_value
    .group_segment_fixed_size: 0
    .kernarg_segment_align: 8
    .kernarg_segment_size: 32
    .language:       OpenCL C
    .language_version:
      - 2
      - 0
    .max_flat_workgroup_size: 256
    .name:           _ZN8rajaperf9polybench10poly_mvt_1ILm256EEEvPdS2_S2_l
    .private_segment_fixed_size: 0
    .sgpr_count:     20
    .sgpr_spill_count: 0
    .symbol:         _ZN8rajaperf9polybench10poly_mvt_1ILm256EEEvPdS2_S2_l.kd
    .uniform_work_group_size: 1
    .uses_dynamic_stack: false
    .vgpr_count:     8
    .vgpr_spill_count: 0
    .wavefront_size: 64
  - .args:
      - .address_space:  global
        .offset:         0
        .size:           8
        .value_kind:     global_buffer
      - .address_space:  global
        .offset:         8
        .size:           8
        .value_kind:     global_buffer
      - .address_space:  global
        .offset:         16
        .size:           8
        .value_kind:     global_buffer
      - .offset:         24
        .size:           8
        .value_kind:     by_value
    .group_segment_fixed_size: 0
    .kernarg_segment_align: 8
    .kernarg_segment_size: 32
    .language:       OpenCL C
    .language_version:
      - 2
      - 0
    .max_flat_workgroup_size: 256
    .name:           _ZN8rajaperf9polybench10poly_mvt_2ILm256EEEvPdS2_S2_l
    .private_segment_fixed_size: 0
    .sgpr_count:     20
    .sgpr_spill_count: 0
    .symbol:         _ZN8rajaperf9polybench10poly_mvt_2ILm256EEEvPdS2_S2_l.kd
    .uniform_work_group_size: 1
    .uses_dynamic_stack: false
    .vgpr_count:     11
    .vgpr_spill_count: 0
    .wavefront_size: 64
  - .args:
      - .offset:         0
        .size:           232
        .value_kind:     by_value
    .group_segment_fixed_size: 0
    .kernarg_segment_align: 8
    .kernarg_segment_size: 232
    .language:       OpenCL C
    .language_version:
      - 2
      - 0
    .max_flat_workgroup_size: 256
    .name:           _ZN4RAJA8internal22HipKernelLauncherFixedILi256ENS0_8LoopDataIN4camp5tupleIJNS_4SpanINS_9Iterators16numeric_iteratorIllPlEElEESA_EEENS4_IJdEEENS3_9resources2v13HipEJZZN8rajaperf9polybench13POLYBENCH_MVT17runHipVariantImplILm256EEEvNSG_9VariantIDEENKUlvE_clEvEUlRdE_ZZNSJ_ILm256EEEvSK_ENKSL_clEvEUlllSM_E_ZZNSJ_ILm256EEEvSK_ENKSL_clEvEUllSM_E_EEENS0_24HipStatementListExecutorISQ_NS3_4listIJNS_9statement3ForILl0ENS_6policy3hip11hip_indexerINS_17iteration_mapping6DirectELNS_23kernel_sync_requirementE0EJNS_3hip11IndexGlobalILNS_9named_dimE0ELi256ELi0EEEEEEJNST_6LambdaILl0EJNSS_IJNS0_9LambdaArgINS0_18lambda_arg_param_tELl0EEEEEEEEENSU_ILl1ENSV_10sequential8seq_execEJNS16_ILl1EJNSS_IJNS17_INS0_16lambda_arg_seg_tELl0EEENS17_IS1E_Ll1EEEEEES1A_EEEEEENS16_ILl2EJNSS_IJS1F_EEES1A_EEEEEEEEENS0_9LoopTypesINSS_IJvvEEES1P_EEEEEEvT0_
    .private_segment_fixed_size: 0
    .sgpr_count:     22
    .sgpr_spill_count: 0
    .symbol:         _ZN4RAJA8internal22HipKernelLauncherFixedILi256ENS0_8LoopDataIN4camp5tupleIJNS_4SpanINS_9Iterators16numeric_iteratorIllPlEElEESA_EEENS4_IJdEEENS3_9resources2v13HipEJZZN8rajaperf9polybench13POLYBENCH_MVT17runHipVariantImplILm256EEEvNSG_9VariantIDEENKUlvE_clEvEUlRdE_ZZNSJ_ILm256EEEvSK_ENKSL_clEvEUlllSM_E_ZZNSJ_ILm256EEEvSK_ENKSL_clEvEUllSM_E_EEENS0_24HipStatementListExecutorISQ_NS3_4listIJNS_9statement3ForILl0ENS_6policy3hip11hip_indexerINS_17iteration_mapping6DirectELNS_23kernel_sync_requirementE0EJNS_3hip11IndexGlobalILNS_9named_dimE0ELi256ELi0EEEEEEJNST_6LambdaILl0EJNSS_IJNS0_9LambdaArgINS0_18lambda_arg_param_tELl0EEEEEEEEENSU_ILl1ENSV_10sequential8seq_execEJNS16_ILl1EJNSS_IJNS17_INS0_16lambda_arg_seg_tELl0EEENS17_IS1E_Ll1EEEEEES1A_EEEEEENS16_ILl2EJNSS_IJS1F_EEES1A_EEEEEEEEENS0_9LoopTypesINSS_IJvvEEES1P_EEEEEEvT0_.kd
    .uniform_work_group_size: 1
    .uses_dynamic_stack: false
    .vgpr_count:     8
    .vgpr_spill_count: 0
    .wavefront_size: 64
  - .args:
      - .offset:         0
        .size:           232
        .value_kind:     by_value
    .group_segment_fixed_size: 0
    .kernarg_segment_align: 8
    .kernarg_segment_size: 232
    .language:       OpenCL C
    .language_version:
      - 2
      - 0
    .max_flat_workgroup_size: 256
    .name:           _ZN4RAJA8internal22HipKernelLauncherFixedILi256ENS0_8LoopDataIN4camp5tupleIJNS_4SpanINS_9Iterators16numeric_iteratorIllPlEElEESA_EEENS4_IJdEEENS3_9resources2v13HipEJZZN8rajaperf9polybench13POLYBENCH_MVT17runHipVariantImplILm256EEEvNSG_9VariantIDEENKUlvE_clEvEUlRdE0_ZZNSJ_ILm256EEEvSK_ENKSL_clEvEUlllSM_E0_ZZNSJ_ILm256EEEvSK_ENKSL_clEvEUllSM_E0_EEENS0_24HipStatementListExecutorISQ_NS3_4listIJNS_9statement3ForILl0ENS_6policy3hip11hip_indexerINS_17iteration_mapping6DirectELNS_23kernel_sync_requirementE0EJNS_3hip11IndexGlobalILNS_9named_dimE0ELi256ELi0EEEEEEJNST_6LambdaILl0EJNSS_IJNS0_9LambdaArgINS0_18lambda_arg_param_tELl0EEEEEEEEENSU_ILl1ENSV_10sequential8seq_execEJNS16_ILl1EJNSS_IJNS17_INS0_16lambda_arg_seg_tELl0EEENS17_IS1E_Ll1EEEEEES1A_EEEEEENS16_ILl2EJNSS_IJS1F_EEES1A_EEEEEEEEENS0_9LoopTypesINSS_IJvvEEES1P_EEEEEEvT0_
    .private_segment_fixed_size: 0
    .sgpr_count:     22
    .sgpr_spill_count: 0
    .symbol:         _ZN4RAJA8internal22HipKernelLauncherFixedILi256ENS0_8LoopDataIN4camp5tupleIJNS_4SpanINS_9Iterators16numeric_iteratorIllPlEElEESA_EEENS4_IJdEEENS3_9resources2v13HipEJZZN8rajaperf9polybench13POLYBENCH_MVT17runHipVariantImplILm256EEEvNSG_9VariantIDEENKUlvE_clEvEUlRdE0_ZZNSJ_ILm256EEEvSK_ENKSL_clEvEUlllSM_E0_ZZNSJ_ILm256EEEvSK_ENKSL_clEvEUllSM_E0_EEENS0_24HipStatementListExecutorISQ_NS3_4listIJNS_9statement3ForILl0ENS_6policy3hip11hip_indexerINS_17iteration_mapping6DirectELNS_23kernel_sync_requirementE0EJNS_3hip11IndexGlobalILNS_9named_dimE0ELi256ELi0EEEEEEJNST_6LambdaILl0EJNSS_IJNS0_9LambdaArgINS0_18lambda_arg_param_tELl0EEEEEEEEENSU_ILl1ENSV_10sequential8seq_execEJNS16_ILl1EJNSS_IJNS17_INS0_16lambda_arg_seg_tELl0EEENS17_IS1E_Ll1EEEEEES1A_EEEEEENS16_ILl2EJNSS_IJS1F_EEES1A_EEEEEEEEENS0_9LoopTypesINSS_IJvvEEES1P_EEEEEEvT0_.kd
    .uniform_work_group_size: 1
    .uses_dynamic_stack: false
    .vgpr_count:     15
    .vgpr_spill_count: 0
    .wavefront_size: 64
amdhsa.target:   amdgcn-amd-amdhsa--gfx906
amdhsa.version:
  - 1
  - 2
...

	.end_amdgpu_metadata
